;; amdgpu-corpus repo=ROCm/rocFFT kind=compiled arch=gfx1201 opt=O3
	.text
	.amdgcn_target "amdgcn-amd-amdhsa--gfx1201"
	.amdhsa_code_object_version 6
	.protected	fft_rtc_back_len714_factors_3_17_7_2_wgs_51_tpt_51_halfLds_half_ip_CI_unitstride_sbrr_C2R_dirReg ; -- Begin function fft_rtc_back_len714_factors_3_17_7_2_wgs_51_tpt_51_halfLds_half_ip_CI_unitstride_sbrr_C2R_dirReg
	.globl	fft_rtc_back_len714_factors_3_17_7_2_wgs_51_tpt_51_halfLds_half_ip_CI_unitstride_sbrr_C2R_dirReg
	.p2align	8
	.type	fft_rtc_back_len714_factors_3_17_7_2_wgs_51_tpt_51_halfLds_half_ip_CI_unitstride_sbrr_C2R_dirReg,@function
fft_rtc_back_len714_factors_3_17_7_2_wgs_51_tpt_51_halfLds_half_ip_CI_unitstride_sbrr_C2R_dirReg: ; @fft_rtc_back_len714_factors_3_17_7_2_wgs_51_tpt_51_halfLds_half_ip_CI_unitstride_sbrr_C2R_dirReg
; %bb.0:
	s_clause 0x2
	s_load_b128 s[4:7], s[0:1], 0x0
	s_load_b64 s[8:9], s[0:1], 0x50
	s_load_b64 s[10:11], s[0:1], 0x18
	v_mul_u32_u24_e32 v1, 0x506, v0
	v_mov_b32_e32 v3, 0
	s_delay_alu instid0(VALU_DEP_2) | instskip(NEXT) | instid1(VALU_DEP_1)
	v_lshrrev_b32_e32 v1, 16, v1
	v_add_nc_u32_e32 v5, ttmp9, v1
	v_mov_b32_e32 v1, 0
	v_mov_b32_e32 v2, 0
	;; [unrolled: 1-line block ×3, first 2 shown]
	s_wait_kmcnt 0x0
	v_cmp_lt_u64_e64 s2, s[6:7], 2
	s_delay_alu instid0(VALU_DEP_1)
	s_and_b32 vcc_lo, exec_lo, s2
	s_cbranch_vccnz .LBB0_8
; %bb.1:
	s_load_b64 s[2:3], s[0:1], 0x10
	v_mov_b32_e32 v1, 0
	v_mov_b32_e32 v2, 0
	s_add_nc_u64 s[12:13], s[10:11], 8
	s_mov_b64 s[14:15], 1
	s_wait_kmcnt 0x0
	s_add_nc_u64 s[16:17], s[2:3], 8
	s_mov_b32 s3, 0
.LBB0_2:                                ; =>This Inner Loop Header: Depth=1
	s_load_b64 s[18:19], s[16:17], 0x0
                                        ; implicit-def: $vgpr7_vgpr8
	s_mov_b32 s2, exec_lo
	s_wait_kmcnt 0x0
	v_or_b32_e32 v4, s19, v6
	s_delay_alu instid0(VALU_DEP_1)
	v_cmpx_ne_u64_e32 0, v[3:4]
	s_wait_alu 0xfffe
	s_xor_b32 s20, exec_lo, s2
	s_cbranch_execz .LBB0_4
; %bb.3:                                ;   in Loop: Header=BB0_2 Depth=1
	s_cvt_f32_u32 s2, s18
	s_cvt_f32_u32 s21, s19
	s_sub_nc_u64 s[24:25], 0, s[18:19]
	s_wait_alu 0xfffe
	s_delay_alu instid0(SALU_CYCLE_1) | instskip(SKIP_1) | instid1(SALU_CYCLE_2)
	s_fmamk_f32 s2, s21, 0x4f800000, s2
	s_wait_alu 0xfffe
	v_s_rcp_f32 s2, s2
	s_delay_alu instid0(TRANS32_DEP_1) | instskip(SKIP_1) | instid1(SALU_CYCLE_2)
	s_mul_f32 s2, s2, 0x5f7ffffc
	s_wait_alu 0xfffe
	s_mul_f32 s21, s2, 0x2f800000
	s_wait_alu 0xfffe
	s_delay_alu instid0(SALU_CYCLE_2) | instskip(SKIP_1) | instid1(SALU_CYCLE_2)
	s_trunc_f32 s21, s21
	s_wait_alu 0xfffe
	s_fmamk_f32 s2, s21, 0xcf800000, s2
	s_cvt_u32_f32 s23, s21
	s_wait_alu 0xfffe
	s_delay_alu instid0(SALU_CYCLE_1) | instskip(SKIP_1) | instid1(SALU_CYCLE_2)
	s_cvt_u32_f32 s22, s2
	s_wait_alu 0xfffe
	s_mul_u64 s[26:27], s[24:25], s[22:23]
	s_wait_alu 0xfffe
	s_mul_hi_u32 s29, s22, s27
	s_mul_i32 s28, s22, s27
	s_mul_hi_u32 s2, s22, s26
	s_mul_i32 s30, s23, s26
	s_wait_alu 0xfffe
	s_add_nc_u64 s[28:29], s[2:3], s[28:29]
	s_mul_hi_u32 s21, s23, s26
	s_mul_hi_u32 s31, s23, s27
	s_add_co_u32 s2, s28, s30
	s_wait_alu 0xfffe
	s_add_co_ci_u32 s2, s29, s21
	s_mul_i32 s26, s23, s27
	s_add_co_ci_u32 s27, s31, 0
	s_wait_alu 0xfffe
	s_add_nc_u64 s[26:27], s[2:3], s[26:27]
	s_wait_alu 0xfffe
	v_add_co_u32 v4, s2, s22, s26
	s_delay_alu instid0(VALU_DEP_1) | instskip(SKIP_1) | instid1(VALU_DEP_1)
	s_cmp_lg_u32 s2, 0
	s_add_co_ci_u32 s23, s23, s27
	v_readfirstlane_b32 s22, v4
	s_wait_alu 0xfffe
	s_delay_alu instid0(VALU_DEP_1)
	s_mul_u64 s[24:25], s[24:25], s[22:23]
	s_wait_alu 0xfffe
	s_mul_hi_u32 s27, s22, s25
	s_mul_i32 s26, s22, s25
	s_mul_hi_u32 s2, s22, s24
	s_mul_i32 s28, s23, s24
	s_wait_alu 0xfffe
	s_add_nc_u64 s[26:27], s[2:3], s[26:27]
	s_mul_hi_u32 s21, s23, s24
	s_mul_hi_u32 s22, s23, s25
	s_wait_alu 0xfffe
	s_add_co_u32 s2, s26, s28
	s_add_co_ci_u32 s2, s27, s21
	s_mul_i32 s24, s23, s25
	s_add_co_ci_u32 s25, s22, 0
	s_wait_alu 0xfffe
	s_add_nc_u64 s[24:25], s[2:3], s[24:25]
	s_wait_alu 0xfffe
	v_add_co_u32 v4, s2, v4, s24
	s_delay_alu instid0(VALU_DEP_1) | instskip(SKIP_1) | instid1(VALU_DEP_1)
	s_cmp_lg_u32 s2, 0
	s_add_co_ci_u32 s2, s23, s25
	v_mul_hi_u32 v13, v5, v4
	s_wait_alu 0xfffe
	v_mad_co_u64_u32 v[7:8], null, v5, s2, 0
	v_mad_co_u64_u32 v[9:10], null, v6, v4, 0
	;; [unrolled: 1-line block ×3, first 2 shown]
	s_delay_alu instid0(VALU_DEP_3) | instskip(SKIP_1) | instid1(VALU_DEP_4)
	v_add_co_u32 v4, vcc_lo, v13, v7
	s_wait_alu 0xfffd
	v_add_co_ci_u32_e32 v7, vcc_lo, 0, v8, vcc_lo
	s_delay_alu instid0(VALU_DEP_2) | instskip(SKIP_1) | instid1(VALU_DEP_2)
	v_add_co_u32 v4, vcc_lo, v4, v9
	s_wait_alu 0xfffd
	v_add_co_ci_u32_e32 v4, vcc_lo, v7, v10, vcc_lo
	s_wait_alu 0xfffd
	v_add_co_ci_u32_e32 v7, vcc_lo, 0, v12, vcc_lo
	s_delay_alu instid0(VALU_DEP_2) | instskip(SKIP_1) | instid1(VALU_DEP_2)
	v_add_co_u32 v4, vcc_lo, v4, v11
	s_wait_alu 0xfffd
	v_add_co_ci_u32_e32 v9, vcc_lo, 0, v7, vcc_lo
	s_delay_alu instid0(VALU_DEP_2) | instskip(SKIP_1) | instid1(VALU_DEP_3)
	v_mul_lo_u32 v10, s19, v4
	v_mad_co_u64_u32 v[7:8], null, s18, v4, 0
	v_mul_lo_u32 v11, s18, v9
	s_delay_alu instid0(VALU_DEP_2) | instskip(NEXT) | instid1(VALU_DEP_2)
	v_sub_co_u32 v7, vcc_lo, v5, v7
	v_add3_u32 v8, v8, v11, v10
	s_delay_alu instid0(VALU_DEP_1) | instskip(SKIP_1) | instid1(VALU_DEP_1)
	v_sub_nc_u32_e32 v10, v6, v8
	s_wait_alu 0xfffd
	v_subrev_co_ci_u32_e64 v10, s2, s19, v10, vcc_lo
	v_add_co_u32 v11, s2, v4, 2
	s_wait_alu 0xf1ff
	v_add_co_ci_u32_e64 v12, s2, 0, v9, s2
	v_sub_co_u32 v13, s2, v7, s18
	v_sub_co_ci_u32_e32 v8, vcc_lo, v6, v8, vcc_lo
	s_wait_alu 0xf1ff
	v_subrev_co_ci_u32_e64 v10, s2, 0, v10, s2
	s_delay_alu instid0(VALU_DEP_3) | instskip(NEXT) | instid1(VALU_DEP_3)
	v_cmp_le_u32_e32 vcc_lo, s18, v13
	v_cmp_eq_u32_e64 s2, s19, v8
	s_wait_alu 0xfffd
	v_cndmask_b32_e64 v13, 0, -1, vcc_lo
	v_cmp_le_u32_e32 vcc_lo, s19, v10
	s_wait_alu 0xfffd
	v_cndmask_b32_e64 v14, 0, -1, vcc_lo
	v_cmp_le_u32_e32 vcc_lo, s18, v7
	;; [unrolled: 3-line block ×3, first 2 shown]
	s_wait_alu 0xfffd
	v_cndmask_b32_e64 v15, 0, -1, vcc_lo
	v_cmp_eq_u32_e32 vcc_lo, s19, v10
	s_wait_alu 0xf1ff
	s_delay_alu instid0(VALU_DEP_2)
	v_cndmask_b32_e64 v7, v15, v7, s2
	s_wait_alu 0xfffd
	v_cndmask_b32_e32 v10, v14, v13, vcc_lo
	v_add_co_u32 v13, vcc_lo, v4, 1
	s_wait_alu 0xfffd
	v_add_co_ci_u32_e32 v14, vcc_lo, 0, v9, vcc_lo
	s_delay_alu instid0(VALU_DEP_3) | instskip(SKIP_2) | instid1(VALU_DEP_3)
	v_cmp_ne_u32_e32 vcc_lo, 0, v10
	s_wait_alu 0xfffd
	v_cndmask_b32_e32 v10, v13, v11, vcc_lo
	v_cndmask_b32_e32 v8, v14, v12, vcc_lo
	v_cmp_ne_u32_e32 vcc_lo, 0, v7
	s_wait_alu 0xfffd
	s_delay_alu instid0(VALU_DEP_2)
	v_dual_cndmask_b32 v7, v4, v10 :: v_dual_cndmask_b32 v8, v9, v8
.LBB0_4:                                ;   in Loop: Header=BB0_2 Depth=1
	s_wait_alu 0xfffe
	s_and_not1_saveexec_b32 s2, s20
	s_cbranch_execz .LBB0_6
; %bb.5:                                ;   in Loop: Header=BB0_2 Depth=1
	v_cvt_f32_u32_e32 v4, s18
	s_sub_co_i32 s20, 0, s18
	s_delay_alu instid0(VALU_DEP_1) | instskip(NEXT) | instid1(TRANS32_DEP_1)
	v_rcp_iflag_f32_e32 v4, v4
	v_mul_f32_e32 v4, 0x4f7ffffe, v4
	s_delay_alu instid0(VALU_DEP_1) | instskip(SKIP_1) | instid1(VALU_DEP_1)
	v_cvt_u32_f32_e32 v4, v4
	s_wait_alu 0xfffe
	v_mul_lo_u32 v7, s20, v4
	s_delay_alu instid0(VALU_DEP_1) | instskip(NEXT) | instid1(VALU_DEP_1)
	v_mul_hi_u32 v7, v4, v7
	v_add_nc_u32_e32 v4, v4, v7
	s_delay_alu instid0(VALU_DEP_1) | instskip(NEXT) | instid1(VALU_DEP_1)
	v_mul_hi_u32 v4, v5, v4
	v_mul_lo_u32 v7, v4, s18
	v_add_nc_u32_e32 v8, 1, v4
	s_delay_alu instid0(VALU_DEP_2) | instskip(NEXT) | instid1(VALU_DEP_1)
	v_sub_nc_u32_e32 v7, v5, v7
	v_subrev_nc_u32_e32 v9, s18, v7
	v_cmp_le_u32_e32 vcc_lo, s18, v7
	s_wait_alu 0xfffd
	s_delay_alu instid0(VALU_DEP_2) | instskip(NEXT) | instid1(VALU_DEP_1)
	v_dual_cndmask_b32 v7, v7, v9 :: v_dual_cndmask_b32 v4, v4, v8
	v_cmp_le_u32_e32 vcc_lo, s18, v7
	s_delay_alu instid0(VALU_DEP_2) | instskip(SKIP_1) | instid1(VALU_DEP_1)
	v_add_nc_u32_e32 v8, 1, v4
	s_wait_alu 0xfffd
	v_dual_cndmask_b32 v7, v4, v8 :: v_dual_mov_b32 v8, v3
.LBB0_6:                                ;   in Loop: Header=BB0_2 Depth=1
	s_wait_alu 0xfffe
	s_or_b32 exec_lo, exec_lo, s2
	s_load_b64 s[20:21], s[12:13], 0x0
	s_delay_alu instid0(VALU_DEP_1)
	v_mul_lo_u32 v4, v8, s18
	v_mul_lo_u32 v11, v7, s19
	v_mad_co_u64_u32 v[9:10], null, v7, s18, 0
	s_add_nc_u64 s[14:15], s[14:15], 1
	s_add_nc_u64 s[12:13], s[12:13], 8
	s_wait_alu 0xfffe
	v_cmp_ge_u64_e64 s2, s[14:15], s[6:7]
	s_add_nc_u64 s[16:17], s[16:17], 8
	s_delay_alu instid0(VALU_DEP_2) | instskip(NEXT) | instid1(VALU_DEP_3)
	v_add3_u32 v4, v10, v11, v4
	v_sub_co_u32 v5, vcc_lo, v5, v9
	s_wait_alu 0xfffd
	s_delay_alu instid0(VALU_DEP_2) | instskip(SKIP_3) | instid1(VALU_DEP_2)
	v_sub_co_ci_u32_e32 v4, vcc_lo, v6, v4, vcc_lo
	s_and_b32 vcc_lo, exec_lo, s2
	s_wait_kmcnt 0x0
	v_mul_lo_u32 v6, s21, v5
	v_mul_lo_u32 v4, s20, v4
	v_mad_co_u64_u32 v[1:2], null, s20, v5, v[1:2]
	s_delay_alu instid0(VALU_DEP_1)
	v_add3_u32 v2, v6, v2, v4
	s_wait_alu 0xfffe
	s_cbranch_vccnz .LBB0_9
; %bb.7:                                ;   in Loop: Header=BB0_2 Depth=1
	v_dual_mov_b32 v5, v7 :: v_dual_mov_b32 v6, v8
	s_branch .LBB0_2
.LBB0_8:
	v_dual_mov_b32 v8, v6 :: v_dual_mov_b32 v7, v5
.LBB0_9:
	s_lshl_b64 s[2:3], s[6:7], 3
	v_mul_hi_u32 v3, 0x5050506, v0
	s_wait_alu 0xfffe
	s_add_nc_u64 s[2:3], s[10:11], s[2:3]
	s_load_b64 s[2:3], s[2:3], 0x0
	s_load_b64 s[0:1], s[0:1], 0x20
	s_delay_alu instid0(VALU_DEP_1)
	v_mul_u32_u24_e32 v3, 51, v3
	s_wait_kmcnt 0x0
	v_mul_lo_u32 v4, s2, v8
	v_mul_lo_u32 v5, s3, v7
	v_mad_co_u64_u32 v[1:2], null, s2, v7, v[1:2]
	v_cmp_gt_u64_e32 vcc_lo, s[0:1], v[7:8]
	s_delay_alu instid0(VALU_DEP_2) | instskip(SKIP_2) | instid1(VALU_DEP_3)
	v_add3_u32 v2, v5, v2, v4
	v_sub_nc_u32_e32 v4, v0, v3
	v_mov_b32_e32 v5, 0
	v_lshlrev_b64_e32 v[2:3], 2, v[1:2]
	s_delay_alu instid0(VALU_DEP_3)
	v_mov_b32_e32 v0, v4
	s_and_saveexec_b32 s1, vcc_lo
	s_cbranch_execz .LBB0_13
; %bb.10:
	v_lshlrev_b64_e32 v[6:7], 2, v[4:5]
	s_delay_alu instid0(VALU_DEP_3) | instskip(SKIP_3) | instid1(VALU_DEP_3)
	v_add_co_u32 v0, s0, s8, v2
	s_wait_alu 0xf1ff
	v_add_co_ci_u32_e64 v1, s0, s9, v3, s0
	v_lshl_add_u32 v21, v4, 2, 0
	v_add_co_u32 v6, s0, v0, v6
	s_wait_alu 0xf1ff
	s_delay_alu instid0(VALU_DEP_3)
	v_add_co_ci_u32_e64 v7, s0, v1, v7, s0
	s_mov_b32 s2, exec_lo
	v_add_nc_u32_e32 v24, 0x800, v21
	s_clause 0xd
	global_load_b32 v8, v[6:7], off
	global_load_b32 v9, v[6:7], off offset:204
	global_load_b32 v10, v[6:7], off offset:408
	;; [unrolled: 1-line block ×13, first 2 shown]
	v_dual_mov_b32 v6, v5 :: v_dual_add_nc_u32 v23, 0x600, v21
	v_dual_mov_b32 v5, v4 :: v_dual_add_nc_u32 v22, 0x400, v21
	s_wait_loadcnt 0xc
	ds_store_2addr_b32 v21, v8, v9 offset1:51
	s_wait_loadcnt 0xa
	ds_store_2addr_b32 v21, v10, v11 offset0:102 offset1:153
	s_wait_loadcnt 0x8
	ds_store_2addr_b32 v21, v12, v13 offset0:204 offset1:255
	;; [unrolled: 2-line block ×6, first 2 shown]
	v_cmpx_eq_u32_e32 50, v4
	s_cbranch_execz .LBB0_12
; %bb.11:
	global_load_b32 v0, v[0:1], off offset:2856
	v_dual_mov_b32 v5, 50 :: v_dual_mov_b32 v4, 50
	v_dual_mov_b32 v1, 0 :: v_dual_mov_b32 v6, 0
	s_wait_loadcnt 0x0
	ds_store_b32 v1, v0 offset:2856
.LBB0_12:
	s_wait_alu 0xfffe
	s_or_b32 exec_lo, exec_lo, s2
	v_mov_b32_e32 v0, v4
	v_mov_b32_e32 v4, v5
	;; [unrolled: 1-line block ×3, first 2 shown]
.LBB0_13:
	s_wait_alu 0xfffe
	s_or_b32 exec_lo, exec_lo, s1
	v_lshlrev_b32_e32 v1, 2, v0
	global_wb scope:SCOPE_SE
	s_wait_dscnt 0x0
	s_barrier_signal -1
	s_barrier_wait -1
	global_inv scope:SCOPE_SE
	v_add_nc_u32_e32 v24, 0, v1
	v_sub_nc_u32_e32 v8, 0, v1
	v_lshlrev_b64_e32 v[4:5], 2, v[4:5]
	s_mov_b32 s1, exec_lo
	ds_load_u16 v1, v24
	ds_load_u16 v6, v8 offset:2856
	s_wait_dscnt 0x0
	v_add_f16_e32 v9, v6, v1
	v_sub_f16_e32 v10, v1, v6
	v_cmpx_ne_u32_e32 0, v0
	s_wait_alu 0xfffe
	s_xor_b32 s1, exec_lo, s1
	s_cbranch_execz .LBB0_15
; %bb.14:
	v_add_co_u32 v9, s0, s4, v4
	s_wait_alu 0xf1ff
	v_add_co_ci_u32_e64 v10, s0, s5, v5, s0
	v_add_f16_e32 v11, v6, v1
	v_sub_f16_e32 v1, v1, v6
	global_load_b32 v7, v[9:10], off offset:2844
	ds_load_u16 v9, v8 offset:2858
	ds_load_u16 v10, v24 offset:2
	s_wait_dscnt 0x0
	v_add_f16_e32 v6, v9, v10
	v_sub_f16_e32 v9, v10, v9
	s_wait_loadcnt 0x0
	v_lshrrev_b32_e32 v12, 16, v7
	s_delay_alu instid0(VALU_DEP_1) | instskip(NEXT) | instid1(VALU_DEP_3)
	v_fma_f16 v13, -v1, v12, v11
	v_fma_f16 v14, v6, v12, -v9
	v_fma_f16 v11, v1, v12, v11
	v_fma_f16 v10, v6, v12, v9
	s_delay_alu instid0(VALU_DEP_4) | instskip(NEXT) | instid1(VALU_DEP_4)
	v_fmac_f16_e32 v13, v7, v6
	v_fmac_f16_e32 v14, v1, v7
	s_delay_alu instid0(VALU_DEP_4) | instskip(NEXT) | instid1(VALU_DEP_4)
	v_fma_f16 v9, -v7, v6, v11
	v_fmac_f16_e32 v10, v1, v7
	s_delay_alu instid0(VALU_DEP_3)
	v_pack_b32_f16 v6, v13, v14
	ds_store_b32 v8, v6 offset:2856
.LBB0_15:
	s_wait_alu 0xfffe
	s_and_not1_saveexec_b32 s0, s1
	s_cbranch_execz .LBB0_17
; %bb.16:
	v_mov_b32_e32 v1, 0
	ds_load_b32 v6, v1 offset:1428
	s_wait_dscnt 0x0
	v_pk_mul_f16 v6, 0xc0004000, v6
	ds_store_b32 v1, v6 offset:1428
.LBB0_17:
	s_wait_alu 0xfffe
	s_or_b32 exec_lo, exec_lo, s0
	v_mov_b32_e32 v1, 0
	s_add_nc_u64 s[0:1], s[4:5], 0xb1c
	v_perm_b32 v9, v10, v9, 0x5040100
	s_delay_alu instid0(VALU_DEP_2) | instskip(SKIP_1) | instid1(VALU_DEP_1)
	v_lshlrev_b64_e32 v[6:7], 2, v[0:1]
	s_wait_alu 0xfffe
	v_add_co_u32 v11, s0, s0, v6
	s_wait_alu 0xf1ff
	s_delay_alu instid0(VALU_DEP_2)
	v_add_co_ci_u32_e64 v12, s0, s1, v7, s0
	v_cmp_gt_u32_e64 s0, 34, v0
	s_clause 0x5
	global_load_b32 v1, v[11:12], off offset:204
	global_load_b32 v13, v[11:12], off offset:408
	;; [unrolled: 1-line block ×6, first 2 shown]
	ds_store_b32 v24, v9
	ds_load_b32 v9, v24 offset:204
	ds_load_b32 v10, v8 offset:2652
	s_wait_dscnt 0x1
	v_lshrrev_b32_e32 v12, 16, v9
	s_wait_dscnt 0x0
	v_lshrrev_b32_e32 v17, 16, v10
	v_add_f16_e32 v18, v9, v10
	v_sub_f16_e32 v9, v9, v10
	s_delay_alu instid0(VALU_DEP_3) | instskip(SKIP_3) | instid1(VALU_DEP_1)
	v_add_f16_e32 v10, v17, v12
	v_sub_f16_e32 v12, v12, v17
	s_wait_loadcnt 0x5
	v_lshrrev_b32_e32 v19, 16, v1
	v_fma_f16 v17, v9, v19, v18
	s_delay_alu instid0(VALU_DEP_3) | instskip(SKIP_2) | instid1(VALU_DEP_4)
	v_fma_f16 v20, v10, v19, v12
	v_fma_f16 v18, -v9, v19, v18
	v_fma_f16 v12, v10, v19, -v12
	v_fma_f16 v17, -v1, v10, v17
	s_delay_alu instid0(VALU_DEP_4) | instskip(NEXT) | instid1(VALU_DEP_4)
	v_fmac_f16_e32 v20, v9, v1
	v_fmac_f16_e32 v18, v1, v10
	s_delay_alu instid0(VALU_DEP_4) | instskip(NEXT) | instid1(VALU_DEP_3)
	v_fmac_f16_e32 v12, v9, v1
	v_pack_b32_f16 v1, v17, v20
	s_wait_loadcnt 0x4
	v_lshrrev_b32_e32 v17, 16, v13
	s_delay_alu instid0(VALU_DEP_3)
	v_pack_b32_f16 v9, v18, v12
	ds_store_b32 v24, v1 offset:204
	ds_store_b32 v8, v9 offset:2652
	ds_load_b32 v1, v24 offset:408
	ds_load_b32 v9, v8 offset:2448
	s_wait_dscnt 0x1
	v_lshrrev_b32_e32 v10, 16, v1
	s_wait_dscnt 0x0
	v_lshrrev_b32_e32 v12, 16, v9
	v_add_f16_e32 v18, v1, v9
	v_sub_f16_e32 v1, v1, v9
	s_delay_alu instid0(VALU_DEP_3) | instskip(SKIP_1) | instid1(VALU_DEP_3)
	v_add_f16_e32 v9, v12, v10
	v_sub_f16_e32 v10, v10, v12
	v_fma_f16 v12, v1, v17, v18
	v_fma_f16 v18, -v1, v17, v18
	s_delay_alu instid0(VALU_DEP_3) | instskip(SKIP_1) | instid1(VALU_DEP_4)
	v_fma_f16 v19, v9, v17, v10
	v_fma_f16 v10, v9, v17, -v10
	v_fma_f16 v12, -v13, v9, v12
	s_delay_alu instid0(VALU_DEP_4) | instskip(NEXT) | instid1(VALU_DEP_4)
	v_fmac_f16_e32 v18, v13, v9
	v_fmac_f16_e32 v19, v1, v13
	s_delay_alu instid0(VALU_DEP_4) | instskip(SKIP_2) | instid1(VALU_DEP_3)
	v_fmac_f16_e32 v10, v1, v13
	s_wait_loadcnt 0x3
	v_lshrrev_b32_e32 v13, 16, v14
	v_pack_b32_f16 v1, v12, v19
	s_delay_alu instid0(VALU_DEP_3)
	v_pack_b32_f16 v9, v18, v10
	ds_store_b32 v24, v1 offset:408
	ds_store_b32 v8, v9 offset:2448
	ds_load_b32 v1, v24 offset:612
	ds_load_b32 v9, v8 offset:2244
	v_add_nc_u32_e32 v19, 0x800, v24
	s_wait_dscnt 0x1
	v_lshrrev_b32_e32 v10, 16, v1
	s_wait_dscnt 0x0
	v_lshrrev_b32_e32 v12, 16, v9
	v_add_f16_e32 v17, v1, v9
	v_sub_f16_e32 v1, v1, v9
	s_delay_alu instid0(VALU_DEP_3) | instskip(SKIP_1) | instid1(VALU_DEP_3)
	v_add_f16_e32 v9, v12, v10
	v_sub_f16_e32 v10, v10, v12
	v_fma_f16 v12, v1, v13, v17
	v_fma_f16 v17, -v1, v13, v17
	s_delay_alu instid0(VALU_DEP_3) | instskip(SKIP_1) | instid1(VALU_DEP_4)
	v_fma_f16 v18, v9, v13, v10
	v_fma_f16 v10, v9, v13, -v10
	v_fma_f16 v12, -v14, v9, v12
	s_delay_alu instid0(VALU_DEP_4) | instskip(SKIP_4) | instid1(VALU_DEP_2)
	v_fmac_f16_e32 v17, v14, v9
	s_wait_loadcnt 0x2
	v_lshrrev_b32_e32 v13, 16, v15
	v_fmac_f16_e32 v18, v1, v14
	v_fmac_f16_e32 v10, v1, v14
	v_pack_b32_f16 v1, v12, v18
	s_delay_alu instid0(VALU_DEP_2)
	v_pack_b32_f16 v9, v17, v10
	ds_store_b32 v24, v1 offset:612
	ds_store_b32 v8, v9 offset:2244
	ds_load_b32 v1, v24 offset:816
	ds_load_b32 v9, v8 offset:2040
	s_wait_dscnt 0x1
	v_lshrrev_b32_e32 v10, 16, v1
	s_wait_dscnt 0x0
	v_lshrrev_b32_e32 v12, 16, v9
	v_add_f16_e32 v14, v1, v9
	v_sub_f16_e32 v1, v1, v9
	s_delay_alu instid0(VALU_DEP_3) | instskip(SKIP_1) | instid1(VALU_DEP_3)
	v_add_f16_e32 v9, v12, v10
	v_sub_f16_e32 v10, v10, v12
	v_fma_f16 v12, v1, v13, v14
	v_fma_f16 v14, -v1, v13, v14
	s_delay_alu instid0(VALU_DEP_3) | instskip(SKIP_1) | instid1(VALU_DEP_4)
	v_fma_f16 v17, v9, v13, v10
	v_fma_f16 v10, v9, v13, -v10
	v_fma_f16 v12, -v15, v9, v12
	s_delay_alu instid0(VALU_DEP_4) | instskip(SKIP_4) | instid1(VALU_DEP_2)
	v_fmac_f16_e32 v14, v15, v9
	s_wait_loadcnt 0x1
	v_lshrrev_b32_e32 v13, 16, v16
	v_fmac_f16_e32 v17, v1, v15
	v_fmac_f16_e32 v10, v1, v15
	v_pack_b32_f16 v1, v12, v17
	s_delay_alu instid0(VALU_DEP_2)
	v_pack_b32_f16 v9, v14, v10
	ds_store_b32 v24, v1 offset:816
	ds_store_b32 v8, v9 offset:2040
	ds_load_b32 v1, v24 offset:1020
	ds_load_b32 v9, v8 offset:1836
	;; [unrolled: 28-line block ×3, first 2 shown]
	s_wait_dscnt 0x1
	v_lshrrev_b32_e32 v10, 16, v1
	s_wait_dscnt 0x0
	v_lshrrev_b32_e32 v12, 16, v9
	v_add_f16_e32 v14, v1, v9
	v_sub_f16_e32 v1, v1, v9
	s_delay_alu instid0(VALU_DEP_3) | instskip(SKIP_1) | instid1(VALU_DEP_3)
	v_add_f16_e32 v9, v12, v10
	v_sub_f16_e32 v10, v10, v12
	v_fma_f16 v12, v1, v13, v14
	v_fma_f16 v14, -v1, v13, v14
	s_delay_alu instid0(VALU_DEP_3) | instskip(SKIP_1) | instid1(VALU_DEP_4)
	v_fma_f16 v15, v9, v13, v10
	v_fma_f16 v10, v9, v13, -v10
	v_fma_f16 v12, -v11, v9, v12
	s_delay_alu instid0(VALU_DEP_4) | instskip(NEXT) | instid1(VALU_DEP_4)
	v_fmac_f16_e32 v14, v11, v9
	v_fmac_f16_e32 v15, v1, v11
	s_delay_alu instid0(VALU_DEP_4) | instskip(SKIP_1) | instid1(VALU_DEP_3)
	v_fmac_f16_e32 v10, v1, v11
	v_add_nc_u32_e32 v11, 0x600, v24
	v_pack_b32_f16 v1, v12, v15
	s_delay_alu instid0(VALU_DEP_3)
	v_pack_b32_f16 v9, v14, v10
	v_add_nc_u32_e32 v14, 0x400, v24
	ds_store_b32 v24, v1 offset:1224
	ds_store_b32 v8, v9 offset:1632
	global_wb scope:SCOPE_SE
	s_wait_dscnt 0x0
	s_barrier_signal -1
	s_barrier_wait -1
	global_inv scope:SCOPE_SE
	global_wb scope:SCOPE_SE
	s_barrier_signal -1
	s_barrier_wait -1
	global_inv scope:SCOPE_SE
	ds_load_2addr_b32 v[9:10], v24 offset1:51
	ds_load_2addr_b32 v[12:13], v24 offset0:204 offset1:238
	ds_load_2addr_b32 v[15:16], v24 offset0:102 offset1:153
	;; [unrolled: 1-line block ×4, first 2 shown]
	ds_load_b32 v23, v24 offset:2720
	ds_load_2addr_b32 v[21:22], v11 offset0:92 offset1:143
	ds_load_2addr_b32 v[25:26], v14 offset0:33 offset1:84
	v_lshlrev_b32_e32 v1, 3, v0
	global_wb scope:SCOPE_SE
	s_wait_dscnt 0x0
	s_barrier_signal -1
	s_barrier_wait -1
	global_inv scope:SCOPE_SE
	v_add_nc_u32_e32 v1, v24, v1
	s_delay_alu instid0(VALU_DEP_1)
	v_add_nc_u32_e32 v28, 0x400, v1
	v_add_nc_u32_e32 v27, 0x4c8, v1
	;; [unrolled: 1-line block ×3, first 2 shown]
	v_pk_add_f16 v8, v9, v13
	v_pk_add_f16 v11, v16, v17
	;; [unrolled: 1-line block ×5, first 2 shown]
	v_pk_add_f16 v13, v13, v21 neg_lo:[0,1] neg_hi:[0,1]
	v_pk_add_f16 v33, v10, v25
	v_pk_add_f16 v34, v25, v22
	v_pk_add_f16 v25, v25, v22 neg_lo:[0,1] neg_hi:[0,1]
	v_pk_add_f16 v30, v17, v20 neg_lo:[0,1] neg_hi:[0,1]
	v_pk_add_f16 v17, v12, v18
	v_pk_add_f16 v35, v15, v26
	;; [unrolled: 1-line block ×3, first 2 shown]
	v_pk_add_f16 v26, v26, v19 neg_lo:[0,1] neg_hi:[0,1]
	v_pk_add_f16 v18, v18, v23 neg_lo:[0,1] neg_hi:[0,1]
	v_pk_add_f16 v8, v8, v21
	v_pk_add_f16 v11, v11, v20
	v_pk_fma_f16 v16, v14, 0.5, v16 op_sel_hi:[1,0,1] neg_lo:[1,0,0] neg_hi:[1,0,0]
	v_pk_fma_f16 v20, v31, 0.5, v12 op_sel_hi:[1,0,1] neg_lo:[1,0,0] neg_hi:[1,0,0]
	;; [unrolled: 1-line block ×3, first 2 shown]
	v_pk_mul_f16 v13, 0x3aee, v13 op_sel_hi:[0,1]
	v_pk_fma_f16 v10, v34, 0.5, v10 op_sel_hi:[1,0,1] neg_lo:[1,0,0] neg_hi:[1,0,0]
	v_pk_mul_f16 v21, 0x3aee, v25 op_sel_hi:[0,1]
	v_pk_add_f16 v14, v17, v23
	v_pk_add_f16 v17, v33, v22
	v_pk_fma_f16 v15, v36, 0.5, v15 op_sel_hi:[1,0,1] neg_lo:[1,0,0] neg_hi:[1,0,0]
	v_pk_mul_f16 v22, 0x3aee, v26 op_sel_hi:[0,1]
	v_pk_add_f16 v12, v35, v19
	v_pk_fma_f16 v38, 0x3aee, v30, v16 op_sel:[0,0,1] op_sel_hi:[0,1,0] neg_lo:[0,1,0] neg_hi:[0,1,0]
	v_pk_fma_f16 v41, 0x3aee, v30, v16 op_sel:[0,0,1] op_sel_hi:[0,1,0]
	v_pk_fma_f16 v43, 0x3aee, v18, v20 op_sel:[0,0,1] op_sel_hi:[0,1,0] neg_lo:[0,1,0] neg_hi:[0,1,0]
	v_pk_fma_f16 v44, 0x3aee, v18, v20 op_sel:[0,0,1] op_sel_hi:[0,1,0]
	v_pk_add_f16 v16, v9, v13 op_sel:[0,1] op_sel_hi:[1,0]
	v_pk_add_f16 v9, v9, v13 op_sel:[0,1] op_sel_hi:[1,0] neg_lo:[0,1] neg_hi:[0,1]
	v_pk_add_f16 v19, v10, v21 op_sel:[0,1] op_sel_hi:[1,0]
	v_pk_add_f16 v18, v10, v21 op_sel:[0,1] op_sel_hi:[1,0] neg_lo:[0,1] neg_hi:[0,1]
	;; [unrolled: 2-line block ×3, first 2 shown]
	v_lshrrev_b32_e32 v15, 16, v43
	v_bfi_b32 v22, 0xffff, v16, v9
	v_bfi_b32 v23, 0xffff, v19, v18
	;; [unrolled: 1-line block ×6, first 2 shown]
	v_alignbit_b32 v30, v38, v41, 16
	v_alignbit_b32 v31, v41, v38, 16
	ds_store_2addr_b32 v1, v22, v23 offset0:2 offset1:155
	ds_store_2addr_b32 v28, v25, v11 offset0:52 offset1:203
	ds_store_2addr_b32 v1, v8, v20 offset1:1
	ds_store_2addr_b32 v1, v17, v21 offset0:153 offset1:154
	ds_store_2addr_b32 v27, v12, v26 offset1:1
	ds_store_2addr_b32 v29, v31, v30 offset1:1
	s_and_saveexec_b32 s1, s0
	s_cbranch_execz .LBB0_19
; %bb.18:
	v_add_nc_u32_e32 v20, 0x994, v1
	v_perm_b32 v21, v44, v15, 0x5040100
	v_alignbit_b32 v22, v43, v44, 16
	ds_store_b32 v1, v14 offset:2448
	ds_store_2addr_b32 v20, v21, v22 offset1:1
.LBB0_19:
	s_wait_alu 0xfffe
	s_or_b32 exec_lo, exec_lo, s1
	v_lshrrev_b32_e32 v20, 16, v38
	v_lshrrev_b32_e32 v47, 16, v9
	;; [unrolled: 1-line block ×4, first 2 shown]
	v_cmp_gt_u32_e64 s0, 42, v0
	v_lshrrev_b32_e32 v51, 16, v16
	v_lshrrev_b32_e32 v48, 16, v17
	;; [unrolled: 1-line block ×5, first 2 shown]
	global_wb scope:SCOPE_SE
	s_wait_dscnt 0x0
	s_barrier_signal -1
	s_barrier_wait -1
	global_inv scope:SCOPE_SE
                                        ; implicit-def: $vgpr53
                                        ; implicit-def: $vgpr25
                                        ; implicit-def: $vgpr55
                                        ; implicit-def: $vgpr23
	s_and_saveexec_b32 s1, s0
	s_cbranch_execz .LBB0_21
; %bb.20:
	v_add_nc_u32_e32 v1, 0x200, v24
	v_add_nc_u32_e32 v14, 0x400, v24
	;; [unrolled: 1-line block ×3, first 2 shown]
	ds_load_2addr_b32 v[8:9], v24 offset1:42
	ds_load_b32 v25, v24 offset:2688
	ds_load_2addr_b32 v[16:17], v24 offset0:84 offset1:126
	ds_load_2addr_b32 v[18:19], v24 offset0:168 offset1:210
	;; [unrolled: 1-line block ×5, first 2 shown]
	v_add_nc_u32_e32 v1, 0x600, v24
	ds_load_2addr_b32 v[22:23], v15 offset0:76 offset1:118
	ds_load_2addr_b32 v[14:15], v1 offset0:120 offset1:162
	s_wait_dscnt 0x8
	v_lshrrev_b32_e32 v51, 16, v9
	s_wait_dscnt 0x7
	v_lshrrev_b32_e32 v53, 16, v25
	;; [unrolled: 2-line block ×3, first 2 shown]
	v_lshrrev_b32_e32 v48, 16, v17
	s_wait_dscnt 0x5
	v_lshrrev_b32_e32 v52, 16, v18
	v_lshrrev_b32_e32 v46, 16, v19
	s_wait_dscnt 0x4
	v_lshrrev_b32_e32 v50, 16, v13
	s_wait_dscnt 0x3
	;; [unrolled: 2-line block ×4, first 2 shown]
	v_lshrrev_b32_e32 v43, 16, v22
	v_lshrrev_b32_e32 v55, 16, v23
	;; [unrolled: 1-line block ×3, first 2 shown]
	v_alignbit_b32 v41, v21, v20, 16
	s_wait_dscnt 0x0
	v_alignbit_b32 v44, v22, v15, 16
.LBB0_21:
	s_wait_alu 0xfffe
	s_or_b32 exec_lo, exec_lo, s1
	global_wb scope:SCOPE_SE
	s_barrier_signal -1
	s_barrier_wait -1
	global_inv scope:SCOPE_SE
	s_and_saveexec_b32 s1, s0
	s_cbranch_execz .LBB0_23
; %bb.22:
	v_and_b32_e32 v1, 0xff, v0
	v_lshrrev_b32_e32 v72, 16, v44
	v_lshrrev_b32_e32 v74, 16, v41
	;; [unrolled: 1-line block ×4, first 2 shown]
	v_mul_lo_u16 v1, 0xab, v1
	s_delay_alu instid0(VALU_DEP_1) | instskip(NEXT) | instid1(VALU_DEP_1)
	v_lshrrev_b16 v21, 9, v1
	v_mul_lo_u16 v1, v21, 3
	s_delay_alu instid0(VALU_DEP_1) | instskip(NEXT) | instid1(VALU_DEP_1)
	v_sub_nc_u16 v1, v0, v1
	v_and_b32_e32 v1, 0xff, v1
	s_delay_alu instid0(VALU_DEP_1)
	v_lshlrev_b32_e32 v22, 6, v1
	v_lshlrev_b32_e32 v1, 2, v1
	s_clause 0x3
	global_load_b128 v[56:59], v22, s[4:5]
	global_load_b128 v[60:63], v22, s[4:5] offset:16
	global_load_b128 v[64:67], v22, s[4:5] offset:32
	;; [unrolled: 1-line block ×3, first 2 shown]
	v_lshrrev_b32_e32 v22, 16, v8
	s_wait_loadcnt 0x3
	v_lshrrev_b32_e32 v27, 16, v56
	v_lshrrev_b32_e32 v28, 16, v57
	;; [unrolled: 1-line block ×3, first 2 shown]
	s_wait_loadcnt 0x0
	v_lshrrev_b32_e32 v37, 16, v71
	v_lshrrev_b32_e32 v40, 16, v70
	v_mul_f16_e32 v80, v9, v27
	v_lshrrev_b32_e32 v29, 16, v58
	v_lshrrev_b32_e32 v31, 16, v60
	v_mul_f16_e32 v26, v53, v37
	v_mul_f16_e32 v79, v25, v37
	v_lshrrev_b32_e32 v33, 16, v62
	v_lshrrev_b32_e32 v35, 16, v66
	;; [unrolled: 1-line block ×4, first 2 shown]
	v_mul_f16_e32 v45, v51, v27
	v_mul_f16_e32 v42, v47, v28
	;; [unrolled: 1-line block ×5, first 2 shown]
	v_fmac_f16_e32 v26, v25, v71
	v_fma_f16 v25, v53, v71, -v79
	v_fma_f16 v53, v51, v56, -v80
	v_lshrrev_b32_e32 v32, 16, v61
	v_lshrrev_b32_e32 v76, 16, v63
	;; [unrolled: 1-line block ×4, first 2 shown]
	v_mul_f16_e32 v27, v55, v40
	v_mul_f16_e32 v40, v48, v29
	v_mul_f16_e32 v28, v43, v39
	v_mul_f16_e32 v83, v72, v39
	v_mul_f16_e32 v84, v17, v29
	v_mul_f16_e32 v39, v52, v30
	v_mul_f16_e32 v29, v44, v78
	v_mul_f16_e32 v37, v46, v31
	v_mul_f16_e32 v87, v19, v31
	v_mul_f16_e32 v31, v38, v35
	v_mul_f16_e32 v88, v74, v35
	v_mul_f16_e32 v35, v50, v33
	v_mul_f16_e32 v91, v13, v33
	v_fmac_f16_e32 v45, v9, v56
	v_fmac_f16_e32 v42, v16, v57
	v_fma_f16 v16, v55, v70, -v81
	v_fma_f16 v51, v47, v57, -v82
	;; [unrolled: 1-line block ×3, first 2 shown]
	v_sub_f16_e32 v52, v53, v25
	v_lshrrev_b32_e32 v77, 16, v64
	v_mul_f16_e32 v78, v15, v78
	v_mul_f16_e32 v30, v73, v36
	;; [unrolled: 1-line block ×9, first 2 shown]
	v_fmac_f16_e32 v27, v23, v70
	v_fmac_f16_e32 v40, v17, v58
	v_fma_f16 v17, v43, v69, -v83
	v_fmac_f16_e32 v29, v15, v68
	v_fmac_f16_e32 v35, v13, v62
	v_fma_f16 v43, v50, v62, -v91
	v_sub_f16_e32 v15, v45, v26
	v_add_f16_e32 v13, v45, v26
	v_sub_f16_e32 v50, v51, v16
	v_mul_f16_e32 v95, 0xbbf7, v52
	v_mul_f16_e32 v99, 0xbbb2, v52
	;; [unrolled: 1-line block ×4, first 2 shown]
	v_fmac_f16_e32 v39, v18, v59
	v_fma_f16 v18, v44, v68, -v78
	v_fmac_f16_e32 v30, v14, v67
	v_fmac_f16_e32 v36, v12, v61
	v_fma_f16 v44, v54, v61, -v89
	v_fmac_f16_e32 v32, v20, v65
	v_fma_f16 v20, v41, v65, -v90
	v_fma_f16 v41, v49, v63, -v76
	v_add_f16_e32 v57, v53, v25
	v_sub_f16_e32 v14, v42, v27
	v_add_f16_e32 v12, v42, v27
	v_mul_f16_e32 v92, 0xbbf7, v15
	v_mul_f16_e32 v96, 0xb1e1, v50
	;; [unrolled: 1-line block ×6, first 2 shown]
	v_fma_f16 v158, v13, 0x2de8, -v95
	v_fma_f16 v162, v13, 0xb461, -v99
	v_fmac_f16_e32 v28, v72, v69
	v_fma_f16 v48, v48, v58, -v84
	v_fma_f16 v23, v38, v66, -v88
	;; [unrolled: 1-line block ×3, first 2 shown]
	v_add_f16_e32 v56, v51, v16
	v_mul_f16_e32 v93, 0xb1e1, v14
	v_mul_f16_e32 v91, 0x3836, v14
	v_mul_f16_e32 v77, 0x3bb2, v14
	v_mul_f16_e32 v102, 0x3bb2, v50
	v_mul_f16_e32 v78, 0xb836, v15
	v_mul_f16_e32 v81, 0xb836, v52
	v_mul_f16_e32 v83, 0xb1e1, v15
	v_fma_f16 v156, 0x2de8, v57, v92
	v_fma_f16 v159, v12, 0xbbdd, -v96
	v_fma_f16 v160, 0xb461, v57, v90
	v_fma_f16 v163, v12, 0xbacd, -v100
	;; [unrolled: 2-line block ×3, first 2 shown]
	v_add_f16_e64 v158, v8, v158
	v_add_f16_e64 v162, v8, v162
	v_fmac_f16_e32 v34, v10, v63
	v_sub_f16_e32 v10, v40, v28
	v_sub_f16_e32 v49, v48, v17
	v_mul_f16_e32 v79, 0x3b29, v14
	v_mul_f16_e32 v82, 0x3b29, v50
	;; [unrolled: 1-line block ×4, first 2 shown]
	v_fma_f16 v157, 0xbbdd, v56, v93
	v_fma_f16 v161, 0xbacd, v56, v91
	v_fma_f16 v165, 0xb461, v56, v77
	v_add_f16_e64 v156, v22, v156
	v_fma_f16 v167, v12, 0xb461, -v102
	v_fma_f16 v168, 0xbacd, v57, v78
	v_add_f16_e64 v160, v22, v160
	v_add_f16_e64 v158, v159, v158
	v_fma_f16 v159, v13, 0xbacd, -v81
	v_add_f16_e64 v164, v22, v164
	v_add_f16_e64 v166, v8, v166
	;; [unrolled: 1-line block ×3, first 2 shown]
	v_fma_f16 v163, 0xbbdd, v57, v83
	v_fmac_f16_e32 v37, v19, v60
	v_fma_f16 v19, v73, v67, -v86
	v_fmac_f16_e32 v33, v11, v64
	v_add_f16_e32 v55, v48, v17
	v_add_f16_e32 v11, v40, v28
	v_mul_f16_e32 v94, 0x3bb2, v10
	v_mul_f16_e32 v97, 0x3bb2, v49
	;; [unrolled: 1-line block ×3, first 2 shown]
	v_add_f16_e64 v156, v157, v156
	v_fma_f16 v157, 0x3722, v56, v79
	v_add_f16_e64 v160, v161, v160
	v_fma_f16 v161, v12, 0x3722, -v82
	v_add_f16_e64 v168, v22, v168
	v_add_f16_e64 v164, v165, v164
	v_fma_f16 v165, 0x3b76, v56, v84
	v_add_f16_e64 v166, v167, v166
	v_fma_f16 v167, v13, 0xbbdd, -v85
	v_fma_f16 v83, v57, 0xbbdd, -v83
	v_fmac_f16_e32 v85, 0xbbdd, v13
	v_fma_f16 v78, v57, 0xbacd, -v78
	v_fmac_f16_e32 v81, 0xbacd, v13
	v_add_f16_e64 v159, v8, v159
	v_add_f16_e64 v163, v22, v163
	v_fma_f16 v46, v46, v60, -v87
	v_sub_f16_e32 v9, v39, v29
	v_sub_f16_e32 v65, v47, v18
	v_mul_f16_e32 v98, 0x3964, v10
	v_mul_f16_e32 v101, 0x3964, v49
	;; [unrolled: 1-line block ×6, first 2 shown]
	v_add_f16_e64 v157, v157, v168
	v_fma_f16 v168, v12, 0x3b76, -v86
	v_fma_f16 v84, v56, 0x3b76, -v84
	v_fmac_f16_e32 v86, 0x3b76, v12
	v_fma_f16 v79, v56, 0x3722, -v79
	v_fmac_f16_e32 v82, 0x3722, v12
	v_add_f16_e64 v167, v8, v167
	v_add_f16_e64 v159, v161, v159
	v_fma_f16 v161, 0xb461, v55, v94
	v_add_f16_e64 v163, v165, v163
	v_fma_f16 v165, v11, 0xb461, -v97
	v_add_f16_e32 v83, v22, v83
	v_add_f16_e32 v85, v8, v85
	;; [unrolled: 1-line block ×4, first 2 shown]
	v_fmac_f16_e32 v31, v74, v66
	v_add_f16_e32 v54, v47, v18
	v_add_f16_e32 v58, v39, v29
	v_sub_f16_e32 v60, v37, v30
	v_sub_f16_e32 v66, v46, v19
	v_mul_f16_e32 v88, 0xb5c8, v10
	v_mul_f16_e32 v104, 0xbbf7, v49
	v_mul_f16_e32 v106, 0x35c8, v9
	v_mul_f16_e32 v108, 0xbb29, v9
	v_mul_f16_e32 v109, 0xbb29, v65
	v_mul_f16_e32 v111, 0xb836, v65
	v_mul_f16_e32 v112, 0x3a62, v9
	v_mul_f16_e32 v114, 0x3964, v9
	v_add_f16_e64 v167, v168, v167
	v_fma_f16 v168, 0x39e9, v55, v98
	v_add_f16_e32 v83, v84, v83
	v_fma_f16 v84, v11, 0x39e9, -v101
	v_add_f16_e32 v85, v86, v85
	v_add_f16_e32 v78, v79, v78
	v_fma_f16 v79, v11, 0x3b76, -v103
	v_add_f16_e64 v169, v82, v81
	v_fmamk_f16 v81, v55, 0x2de8, v80
	v_add_f16_e64 v82, v161, v156
	v_add_f16_e64 v158, v165, v158
	v_fma_f16 v161, 0xbacd, v55, v87
	v_fma_f16 v165, v11, 0xbacd, -v105
	v_fmac_f16_e32 v105, 0xbacd, v11
	v_add_f16_e32 v68, v46, v19
	v_add_f16_e32 v59, v37, v30
	v_sub_f16_e32 v62, v36, v31
	v_sub_f16_e32 v67, v44, v23
	v_mul_f16_e32 v107, 0x35c8, v65
	v_mul_f16_e32 v110, 0xb836, v9
	;; [unrolled: 1-line block ×10, first 2 shown]
	v_fmamk_f16 v86, v55, 0x3b76, v88
	v_fma_f16 v156, v11, 0x2de8, -v104
	v_add_f16_e64 v160, v168, v160
	v_fma_f16 v87, v55, 0xbacd, -v87
	v_fma_f16 v80, v55, 0x2de8, -v80
	v_add_f16_e64 v84, v84, v162
	v_fma_f16 v162, 0x3b76, v54, v106
	v_add_f16_e64 v79, v79, v166
	v_fma_f16 v166, 0x3722, v54, v108
	v_add_f16_e64 v81, v81, v157
	v_fma_f16 v157, v58, 0x3722, -v109
	v_add_f16_e64 v161, v161, v163
	v_fma_f16 v163, v58, 0xbacd, -v111
	v_add_f16_e64 v165, v165, v167
	v_fma_f16 v167, 0xb8d2, v54, v112
	v_add_f16_e32 v85, v105, v85
	v_fmamk_f16 v105, v54, 0x39e9, v114
	v_add_f16_e32 v70, v44, v23
	v_add_f16_e32 v61, v36, v31
	v_sub_f16_e32 v64, v35, v32
	v_sub_f16_e32 v69, v43, v20
	v_mul_f16_e32 v117, 0xbb29, v66
	v_mul_f16_e32 v120, 0x3bf7, v60
	;; [unrolled: 1-line block ×5, first 2 shown]
	v_mul_f16_e64 v128, 0x3bf7, v62
	v_mul_f16_e64 v129, 0x3bf7, v67
	;; [unrolled: 1-line block ×4, first 2 shown]
	v_add_f16_e64 v86, v86, v164
	v_fma_f16 v164, v58, 0x3b76, -v107
	v_add_f16_e64 v156, v156, v159
	v_fma_f16 v159, 0xbacd, v54, v110
	v_add_f16_e32 v83, v87, v83
	v_fma_f16 v87, v58, 0xb8d2, -v113
	v_add_f16_e32 v78, v80, v78
	v_fma_f16 v80, v58, 0x39e9, -v115
	v_fma_f16 v114, v54, 0x39e9, -v114
	;; [unrolled: 1-line block ×3, first 2 shown]
	v_add_f16_e64 v82, v162, v82
	v_fma_f16 v162, 0x3722, v68, v116
	v_add_f16_e64 v160, v166, v160
	v_fma_f16 v166, 0xbbdd, v68, v118
	v_add_f16_e64 v84, v157, v84
	v_fma_f16 v157, v59, 0xbbdd, -v119
	v_add_f16_e64 v79, v163, v79
	v_fma_f16 v163, v59, 0x2de8, -v121
	v_add_f16_e64 v81, v167, v81
	v_fma_f16 v167, 0x3b76, v68, v122
	v_add_f16_e64 v105, v105, v161
	v_fma_f16 v161, 0xb8d2, v68, v124
	v_add_f16_e32 v71, v43, v20
	v_add_f16_e32 v63, v35, v32
	v_sub_f16_e32 v72, v34, v33
	v_sub_f16_e32 v74, v41, v38
	v_mul_f16_e32 v127, 0xb836, v67
	v_mul_f16_e64 v130, 0xb964, v62
	v_mul_f16_e64 v131, 0xb964, v67
	;; [unrolled: 1-line block ×8, first 2 shown]
	v_fmac_f16_e32 v115, 0x39e9, v58
	v_add_f16_e64 v158, v164, v158
	v_fma_f16 v164, v59, 0x3722, -v117
	v_add_f16_e64 v86, v159, v86
	v_fma_f16 v159, 0x2de8, v68, v120
	v_add_f16_e64 v87, v87, v156
	v_fma_f16 v156, v59, 0x3b76, -v123
	v_add_f16_e64 v80, v80, v165
	v_fma_f16 v165, v59, 0xb8d2, -v125
	v_fma_f16 v124, v68, 0xb8d2, -v124
	;; [unrolled: 1-line block ×3, first 2 shown]
	v_add_f16_e32 v83, v114, v83
	v_fmamk_f16 v114, v70, 0xbacd, v126
	v_add_f16_e32 v78, v112, v78
	v_fma_f16 v112, 0x2de8, v70, v128
	v_add_f16_e64 v82, v162, v82
	v_fma_f16 v162, v61, 0x2de8, -v129
	v_add_f16_e64 v160, v166, v160
	v_add_f16_e64 v84, v157, v84
	v_fma_f16 v157, 0xbbdd, v70, v132
	v_add_f16_e64 v79, v163, v79
	v_fma_f16 v163, 0x3722, v70, v134
	v_add_f16_e64 v81, v167, v81
	v_add_f16_e64 v105, v161, v105
	v_add_f16_e32 v75, v41, v38
	v_add_f16_e32 v73, v34, v33
	v_mul_f16_e64 v137, 0x3a62, v69
	v_mul_f16_e64 v141, 0xb1e1, v69
	;; [unrolled: 1-line block ×7, first 2 shown]
	v_add_f16_e32 v85, v115, v85
	v_fma_f16 v115, v61, 0xbacd, -v127
	v_add_f16_e64 v158, v164, v158
	v_fma_f16 v164, 0x39e9, v70, v130
	v_fma_f16 v166, v61, 0x39e9, -v131
	v_add_f16_e64 v86, v159, v86
	v_fma_f16 v159, v61, 0xbbdd, -v133
	v_fma_f16 v134, v70, 0x3722, -v134
	;; [unrolled: 1-line block ×3, first 2 shown]
	v_add_f16_e64 v87, v156, v87
	v_fma_f16 v156, 0xb8d2, v71, v136
	v_add_f16_e64 v80, v165, v80
	v_fma_f16 v165, 0x3b76, v71, v138
	v_add_f16_e32 v83, v124, v83
	v_fma_f16 v124, v63, 0x3b76, -v139
	v_add_f16_e32 v78, v122, v78
	v_add_f16_e32 v82, v114, v82
	v_fma_f16 v114, 0x39e9, v71, v142
	v_add_f16_e64 v112, v112, v160
	v_fma_f16 v160, 0xb461, v71, v144
	v_add_f16_e64 v84, v162, v84
	v_add_f16_e64 v81, v157, v81
	;; [unrolled: 1-line block ×3, first 2 shown]
	v_fma_f16 v76, v57, 0xb8d2, -v76
	v_fma_f16 v161, v63, 0xb8d2, -v137
	;; [unrolled: 1-line block ×3, first 2 shown]
	v_add_f16_e64 v115, v115, v158
	v_fma_f16 v142, v71, 0x39e9, -v142
	v_add_f16_e64 v86, v164, v86
	v_fma_f16 v164, 0x39e9, v75, v146
	v_add_f16_e64 v79, v166, v79
	v_fma_f16 v157, 0xb8d2, v75, v148
	v_add_f16_e64 v87, v159, v87
	v_fma_f16 v159, v73, 0xb8d2, -v149
	v_add_f16_e64 v83, v134, v83
	v_fma_f16 v134, 0xb461, v75, v152
	v_add_f16_e64 v78, v132, v78
	v_fma_f16 v132, 0x2de8, v75, v154
	v_add_f16_e64 v82, v156, v82
	v_fmac_f16_e32 v104, 0x2de8, v11
	v_fma_f16 v168, v56, 0xb461, -v77
	v_add_f16_e64 v170, v22, v76
	v_add_f16_e64 v112, v165, v112
	v_add_f16_e32 v84, v124, v84
	v_add_f16_e32 v114, v114, v81
	v_add_f16_e64 v105, v160, v105
	v_add_f16_e64 v77, v161, v115
	v_add_f16_e32 v115, v122, v79
	v_add_f16_e64 v142, v142, v78
	v_add_f16_e64 v76, v164, v82
	;; [unrolled: 1-line block ×6, first 2 shown]
	v_fma_f16 v105, v75, 0xb461, -v152
	v_add_f16_e64 v104, v104, v169
	v_fmac_f16_e32 v113, 0xb8d2, v58
	v_add_f16_e64 v112, v168, v170
	v_fma_f16 v114, v55, 0x3b76, -v88
	v_fmac_f16_e32 v89, 0xb8d2, v13
	v_add_f16_e64 v88, v105, v142
	v_add_f16_e32 v104, v113, v104
	v_fmac_f16_e32 v123, 0x3b76, v59
	v_add_f16_e32 v105, v114, v112
	v_fma_f16 v110, v54, 0xbacd, -v110
	v_add_f16_e32 v89, v8, v89
	v_fmac_f16_e32 v102, 0xb461, v12
	v_mul_f16_e64 v135, 0x3b29, v67
	v_mul_f16_e64 v143, 0x3964, v69
	v_fmac_f16_e32 v125, 0xb8d2, v59
	v_add_f16_e32 v104, v123, v104
	v_fmac_f16_e64 v133, 0xbbdd, v61
	v_add_f16_e32 v105, v110, v105
	v_fma_f16 v110, v68, 0x2de8, -v120
	v_add_f16_e32 v89, v102, v89
	v_fmac_f16_e32 v103, 0x3b76, v11
	v_mul_f16_e64 v140, 0xb1e1, v64
	v_mul_f16_e64 v153, 0xbbb2, v74
	v_fma_f16 v167, v61, 0x3722, -v135
	v_fmac_f16_e64 v135, 0x3722, v61
	v_add_f16_e32 v85, v125, v85
	v_fma_f16 v158, v63, 0x39e9, -v143
	v_add_f16_e64 v102, v133, v104
	v_fmac_f16_e64 v143, 0x39e9, v63
	v_add_f16_e32 v104, v110, v105
	v_fma_f16 v105, v70, 0x39e9, -v130
	v_add_f16_e32 v89, v103, v89
	v_fmac_f16_e32 v111, 0xbacd, v58
	v_add_f16_e64 v85, v135, v85
	v_fma_f16 v135, v73, 0xb461, -v153
	v_add_f16_e64 v102, v143, v102
	v_fmac_f16_e64 v153, 0xb461, v73
	v_add_f16_e32 v103, v105, v104
	v_fma_f16 v104, v71, 0xbbdd, -v140
	v_add_f16_e32 v105, v111, v89
	v_fmac_f16_e32 v121, 0x2de8, v59
	v_fma_f16 v90, v57, 0xb461, -v90
	v_mul_f16_e64 v150, 0x3b29, v72
	v_add_f16_e64 v89, v153, v102
	v_add_f16_e32 v102, v104, v103
	v_add_f16_e32 v104, v121, v105
	;; [unrolled: 1-line block ×3, first 2 shown]
	v_fma_f16 v91, v56, 0xbacd, -v91
	v_fma_f16 v103, v75, 0x3722, -v150
	v_fmac_f16_e32 v99, 0xb461, v13
	v_fma_f16 v98, v55, 0x39e9, -v98
	v_fmac_f16_e32 v100, 0xbacd, v12
	v_add_f16_e32 v91, v91, v105
	v_add_f16_e32 v90, v103, v102
	;; [unrolled: 1-line block ×3, first 2 shown]
	v_fma_f16 v103, v54, 0x3722, -v108
	v_fma_f16 v92, v57, 0x2de8, -v92
	v_add_f16_e32 v98, v98, v91
	v_fmac_f16_e32 v101, 0x39e9, v11
	v_add_f16_e32 v99, v100, v99
	v_fma_f16 v100, v68, 0xbbdd, -v118
	v_add_f16_e32 v92, v22, v92
	v_add_f16_e32 v98, v103, v98
	v_fma_f16 v93, v56, 0xbbdd, -v93
	v_add_f16_e32 v99, v101, v99
	v_fmac_f16_e32 v109, 0x3722, v58
	v_fmac_f16_e32 v119, 0xbbdd, v59
	v_add_f16_e32 v98, v100, v98
	v_fma_f16 v100, v70, 0x2de8, -v128
	v_add_f16_e32 v92, v93, v92
	v_fma_f16 v93, v55, 0xb461, -v94
	v_add_f16_e32 v99, v109, v99
	v_fmac_f16_e64 v129, 0x2de8, v61
	v_add_f16_e32 v94, v100, v98
	v_fma_f16 v98, v71, 0x3b76, -v138
	v_add_f16_e32 v92, v93, v92
	v_fma_f16 v93, v54, 0x3b76, -v106
	v_add_f16_e32 v99, v119, v99
	v_fmac_f16_e32 v95, 0x2de8, v13
	v_add_f16_e32 v94, v98, v94
	v_fma_f16 v98, v75, 0xb8d2, -v148
	v_add_f16_e32 v93, v93, v92
	v_fma_f16 v100, v68, 0x3722, -v116
	v_add_f16_e32 v45, v8, v45
	v_add_f16_e64 v99, v129, v99
	v_fmac_f16_e64 v139, 0x3b76, v63
	v_add_f16_e32 v95, v8, v95
	v_fmac_f16_e32 v96, 0xbbdd, v12
	v_add_f16_e32 v92, v98, v94
	v_add_f16_e32 v93, v100, v93
	v_fma_f16 v94, v70, 0xbacd, -v126
	v_add_f16_e32 v42, v45, v42
	v_add_f16_e32 v53, v22, v53
	v_fmac_f16_e64 v131, 0x39e9, v61
	v_add_f16_e64 v98, v139, v99
	v_add_f16_e32 v95, v96, v95
	v_fmac_f16_e32 v97, 0xb461, v11
	v_add_f16_e32 v94, v94, v93
	v_fma_f16 v96, v71, 0xb8d2, -v136
	v_mul_f16_e32 v99, 0x3722, v57
	v_add_f16_e32 v40, v42, v40
	v_add_f16_e32 v42, v53, v51
	v_mul_f16_e64 v151, 0x3b29, v74
	v_add_f16_e64 v102, v131, v104
	v_fmac_f16_e64 v141, 0xbbdd, v63
	v_fmac_f16_e64 v149, 0xb8d2, v73
	v_add_f16_e32 v95, v97, v95
	v_add_f16_e32 v94, v96, v94
	v_fmamk_f16 v96, v15, 0x3b29, v99
	v_mul_f16_e32 v97, 0xb8d2, v56
	v_add_f16_e32 v39, v40, v39
	v_add_f16_e32 v40, v42, v48
	v_add_f16_e64 v80, v167, v80
	v_fma_f16 v167, v73, 0x3722, -v151
	v_add_f16_e64 v102, v141, v102
	v_fmac_f16_e64 v151, 0x3722, v73
	v_add_f16_e64 v93, v149, v98
	v_fma_f16 v98, v75, 0x39e9, -v146
	v_add_f16_e32 v96, v22, v96
	v_fmamk_f16 v100, v14, 0x3a62, v97
	v_mul_f16_e32 v101, 0xbbdd, v55
	v_add_f16_e32 v37, v39, v37
	v_add_f16_e32 v39, v40, v47
	v_add_f16_e64 v91, v151, v102
	v_add_f16_e32 v94, v98, v94
	v_add_f16_e32 v96, v100, v96
	v_fmamk_f16 v98, v10, 0xb1e1, v101
	v_mul_f16_e32 v100, 0xb461, v54
	v_mul_f16_e32 v102, 0xbb29, v52
	v_add_f16_e32 v36, v37, v36
	v_add_f16_e32 v37, v39, v46
	v_fmac_f16_e32 v107, 0x3b76, v58
	v_add_f16_e32 v96, v98, v96
	v_fmamk_f16 v98, v9, 0xbbb2, v100
	v_mul_f16_e32 v103, 0x39e9, v68
	v_fmamk_f16 v104, v13, 0x3722, v102
	v_mul_f16_e32 v105, 0xba62, v50
	v_mul_f16_e32 v39, 0xb5c8, v52
	v_add_f16_e32 v35, v36, v35
	v_add_f16_e32 v36, v37, v44
	;; [unrolled: 1-line block ×4, first 2 shown]
	v_fmamk_f16 v98, v60, 0xb964, v103
	v_mul_f16_e32 v106, 0x3b76, v70
	v_add_f16_e32 v104, v8, v104
	v_fmamk_f16 v107, v12, 0xb8d2, v105
	v_mul_f16_e32 v108, 0x31e1, v49
	v_fmamk_f16 v37, v13, 0x3b76, v39
	v_mul_f16_e32 v44, 0xb964, v50
	v_add_f16_e32 v34, v35, v34
	v_add_f16_e32 v35, v36, v43
	;; [unrolled: 1-line block ×3, first 2 shown]
	v_fmamk_f16 v98, v62, 0x35c8, v106
	v_mul_f16_e32 v109, 0x2de8, v71
	v_add_f16_e32 v104, v107, v104
	v_fmamk_f16 v107, v11, 0xbbdd, v108
	v_mul_f16_e32 v110, 0x3bb2, v65
	v_add_f16_e32 v36, v8, v37
	;; [unrolled: 3-line block ×3, first 2 shown]
	v_add_f16_e32 v34, v35, v41
	v_add_f16_e32 v96, v98, v96
	v_fmamk_f16 v98, v64, 0x3bf7, v109
	v_add_f16_e32 v104, v107, v104
	v_fmamk_f16 v107, v58, 0xb461, v110
	v_mul_f16_e32 v111, 0x3964, v66
	v_add_f16_e32 v35, v37, v36
	v_fmamk_f16 v36, v11, 0x3722, v43
	v_mul_f16_e32 v37, 0xbbf7, v65
	v_add_f16_e32 v32, v33, v32
	v_add_f16_e32 v33, v34, v38
	;; [unrolled: 1-line block ×3, first 2 shown]
	v_mul_f16_e32 v98, 0x39e9, v57
	v_add_f16_e32 v104, v107, v104
	v_fmamk_f16 v107, v59, 0x39e9, v111
	v_mul_f16_e32 v112, 0xb5c8, v67
	v_add_f16_e32 v34, v36, v35
	v_fmamk_f16 v35, v58, 0x2de8, v37
	v_mul_f16_e32 v36, 0xbbb2, v66
	v_add_f16_e32 v31, v32, v31
	v_add_f16_e32 v20, v33, v20
	v_mul_f16_e64 v145, 0xbbb2, v69
	v_add_f16_e64 v81, v167, v115
	v_fmac_f16_e32 v117, 0x3722, v59
	v_fmamk_f16 v114, v15, 0x3964, v98
	v_mul_f16_e32 v115, 0x2de8, v56
	v_add_f16_e32 v104, v107, v104
	v_fmamk_f16 v107, v61, 0x3b76, v112
	v_mul_f16_e32 v116, 0xbbf7, v69
	v_add_f16_e32 v32, v35, v34
	;; [unrolled: 3-line block ×3, first 2 shown]
	v_add_f16_e32 v20, v20, v23
	v_mul_f16_e64 v155, 0x3bf7, v74
	v_fma_f16 v162, v63, 0xb461, -v145
	v_add_f16_e32 v95, v117, v95
	v_mul_f16_e32 v113, 0xbacd, v75
	v_add_f16_e32 v114, v22, v114
	v_fmamk_f16 v117, v14, 0x3bf7, v115
	v_mul_f16_e32 v118, 0xb8d2, v55
	v_add_f16_e32 v104, v107, v104
	v_fmamk_f16 v107, v63, 0x2de8, v116
	v_add_f16_e32 v23, v33, v32
	v_fmamk_f16 v31, v61, 0xb8d2, v34
	v_mul_f16_e32 v32, 0xb836, v69
	v_add_f16_e32 v29, v30, v29
	v_add_f16_e32 v19, v20, v19
	v_fma_f16 v125, 0xbbdd, v71, v140
	v_fma_f16 v144, v71, 0xb461, -v144
	v_fmac_f16_e64 v145, 0xb461, v63
	v_fma_f16 v156, v73, 0x2de8, -v155
	v_add_f16_e64 v122, v162, v80
	v_fmamk_f16 v119, v72, 0x3836, v113
	v_add_f16_e32 v114, v117, v114
	v_fmamk_f16 v117, v10, 0x3a62, v118
	v_mul_f16_e32 v120, 0xbbdd, v54
	v_add_f16_e32 v104, v107, v104
	v_mul_f16_e32 v107, 0xb964, v52
	v_add_f16_e32 v20, v31, v23
	v_fmamk_f16 v23, v63, 0xbacd, v32
	v_add_f16_e32 v28, v29, v28
	v_mul_f16_e32 v29, 0xb1e1, v74
	v_fmac_f16_e32 v99, 0xbb29, v15
	v_add_f16_e32 v18, v19, v18
	v_fma_f16 v163, 0x3722, v75, v150
	v_fma_f16 v154, v75, 0x2de8, -v154
	v_fmac_f16_e64 v155, 0x2de8, v73
	v_add_f16_e32 v86, v125, v86
	v_add_f16_e64 v87, v158, v87
	v_add_f16_e64 v124, v144, v83
	;; [unrolled: 1-line block ×4, first 2 shown]
	v_add_f16_e32 v96, v119, v96
	v_add_f16_e32 v114, v117, v114
	v_fmamk_f16 v117, v9, 0x31e1, v120
	v_mul_f16_e32 v119, 0xbacd, v68
	v_fmamk_f16 v122, v13, 0x39e9, v107
	v_mul_f16_e32 v123, 0xbbf7, v50
	v_add_f16_e32 v19, v23, v20
	v_add_f16_e32 v20, v28, v27
	v_fmamk_f16 v23, v73, 0xbbdd, v29
	v_add_f16_e32 v27, v22, v99
	v_fmac_f16_e32 v97, 0xba62, v14
	v_add_f16_e32 v17, v18, v17
	v_fma_f16 v18, v13, 0x3722, -v102
	v_add_f16_e64 v80, v163, v86
	v_add_f16_e64 v83, v135, v87
	;; [unrolled: 1-line block ×4, first 2 shown]
	v_fmac_f16_e32 v127, 0xbacd, v61
	v_add_f16_e32 v114, v117, v114
	v_fmamk_f16 v117, v60, 0xb836, v119
	v_mul_f16_e32 v124, 0xb461, v70
	v_add_f16_e32 v122, v8, v122
	v_fmamk_f16 v125, v12, 0x2de8, v123
	v_mul_f16_e32 v126, 0xba62, v49
	v_add_f16_e32 v19, v23, v19
	v_add_f16_e32 v20, v20, v26
	v_add_f16_e32 v23, v97, v27
	v_fmac_f16_e32 v101, 0x31e1, v10
	v_add_f16_e32 v18, v8, v18
	v_fma_f16 v26, v12, 0xb8d2, -v105
	v_fmac_f16_e32 v98, 0xb964, v15
	v_add_f16_e32 v95, v127, v95
	v_add_f16_e32 v114, v117, v114
	v_fmamk_f16 v117, v62, 0xbbb2, v124
	v_mul_f16_e32 v127, 0x3722, v71
	v_add_f16_e32 v122, v125, v122
	v_fmamk_f16 v125, v11, 0xb8d2, v126
	v_mul_f16_e64 v128, 0xb1e1, v65
	v_add_f16_e32 v16, v17, v16
	v_add_f16_e32 v17, v101, v23
	v_add_f16_e32 v18, v26, v18
	v_fma_f16 v23, v11, 0xbbdd, -v108
	v_add_f16_e32 v26, v22, v98
	v_fmac_f16_e32 v115, 0xbbf7, v14
	v_add_f16_e32 v114, v117, v114
	v_fmamk_f16 v117, v64, 0xbb29, v127
	v_mul_f16_e64 v129, 0x3b76, v75
	v_add_f16_e32 v122, v125, v122
	v_fma_f16 v125, 0xbbdd, v58, v128
	v_mul_f16_e64 v130, 0x3836, v66
	v_add_f16_e32 v18, v23, v18
	v_fma_f16 v23, v58, 0xb461, -v110
	v_add_f16_e32 v26, v115, v26
	v_fmac_f16_e32 v118, 0xba62, v10
	v_add_f16_e32 v114, v117, v114
	v_fma_f16 v117, 0xb5c8, v72, v129
	v_add_f16_e32 v122, v125, v122
	v_fma_f16 v125, 0xbacd, v59, v130
	v_mul_f16_e32 v57, 0x3b76, v57
	v_add_f16_e32 v18, v23, v18
	v_fma_f16 v23, v59, 0x39e9, -v111
	v_add_f16_e32 v26, v118, v26
	v_fmac_f16_e32 v120, 0xb1e1, v9
	v_add_f16_e32 v114, v117, v114
	v_add_f16_e32 v117, v125, v122
	v_fmamk_f16 v122, v15, 0x35c8, v57
	v_mul_f16_e32 v56, 0x39e9, v56
	v_add_f16_e32 v18, v23, v18
	v_fma_f16 v23, v61, 0x3b76, -v112
	v_add_f16_e32 v26, v120, v26
	v_fmac_f16_e32 v119, 0x3836, v60
	v_add_f16_e32 v122, v22, v122
	v_fma_f16 v133, 0x3964, v14, v56
	v_mul_f16_e32 v55, 0x3722, v55
	v_mul_f16_e32 v121, 0xb836, v74
	v_add_f16_e32 v16, v16, v25
	v_add_f16_e32 v18, v23, v18
	v_fma_f16 v23, v63, 0x2de8, -v116
	v_add_f16_e32 v25, v119, v26
	v_fmac_f16_e32 v124, 0x3bb2, v62
	v_fma_f16 v26, v13, 0x39e9, -v107
	v_add_f16_e64 v45, v133, v122
	v_fmamk_f16 v122, v10, 0x3b29, v55
	v_mul_f16_e32 v54, 0x2de8, v54
	v_add_f16_e32 v18, v23, v18
	v_fma_f16 v23, v73, 0xbacd, -v121
	v_add_f16_e32 v25, v124, v25
	v_fmac_f16_e32 v127, 0x3b29, v64
	v_add_f16_e32 v26, v8, v26
	v_fma_f16 v27, v12, 0x2de8, -v123
	v_fmac_f16_e32 v57, 0xb5c8, v15
	v_fma_f16 v13, v13, 0x3b76, -v39
	v_add_f16_e32 v45, v122, v45
	v_fmamk_f16 v51, v9, 0x3bf7, v54
	v_mul_f16_e32 v53, 0xb461, v68
	v_add_f16_e32 v15, v23, v18
	v_add_f16_e32 v18, v127, v25
	;; [unrolled: 1-line block ×3, first 2 shown]
	v_fma_f16 v25, v11, 0xb8d2, -v126
	v_add_f16_e32 v22, v22, v57
	v_fmac_f16_e32 v56, 0xb964, v14
	v_fmac_f16_e32 v55, 0xbb29, v10
	v_add_f16_e32 v8, v8, v13
	v_fma_f16 v10, v12, 0x39e9, -v44
	v_add_f16_e32 v42, v51, v45
	v_fmamk_f16 v45, v60, 0x3bb2, v53
	v_mul_f16_e32 v48, 0xb8d2, v70
	v_fma_f16 v131, 0xbacd, v73, v121
	v_fmac_f16_e32 v100, 0x3bb2, v9
	v_add_f16_e32 v14, v25, v23
	v_fma_f16 v23, v58, 0xbbdd, -v128
	v_add_f16_e32 v22, v56, v22
	v_fmac_f16_e32 v54, 0xbbf7, v9
	v_add_f16_e32 v8, v10, v8
	v_fma_f16 v9, v11, 0x3722, -v43
	v_add_f16_e32 v42, v45, v42
	v_fmamk_f16 v45, v62, 0x3a62, v48
	v_add_f16_e64 v104, v131, v104
	v_mul_f16_e64 v131, 0x3bb2, v67
	v_add_f16_e32 v12, v23, v14
	v_fma_f16 v13, v59, 0xbacd, -v130
	v_add_f16_e32 v14, v55, v22
	v_add_f16_e32 v8, v9, v8
	v_fma_f16 v9, v58, 0x2de8, -v37
	v_add_f16_e32 v42, v45, v42
	v_mul_f16_e32 v45, 0xbacd, v71
	v_fma_f16 v125, 0xb461, v61, v131
	v_mul_f16_e64 v132, 0x3b29, v69
	v_add_f16_e32 v17, v100, v17
	v_fmac_f16_e32 v103, 0x3964, v60
	v_add_f16_e32 v10, v13, v12
	v_fma_f16 v11, v61, 0xb461, -v131
	v_add_f16_e32 v12, v54, v14
	v_fmac_f16_e32 v53, 0xbbb2, v60
	v_add_f16_e32 v8, v9, v8
	v_fma_f16 v9, v59, 0xb461, -v36
	v_fmamk_f16 v46, v64, 0x3836, v45
	v_mul_f16_e32 v38, 0xbbdd, v75
	v_add_f16_e32 v117, v125, v117
	v_fma_f16 v125, 0x3722, v63, v132
	v_mul_f16_e32 v68, 0x35c8, v74
	v_mul_f16_e64 v147, 0x3964, v74
	v_fmac_f16_e64 v137, 0xb8d2, v63
	v_add_f16_e32 v17, v103, v17
	v_fmac_f16_e32 v106, 0xb5c8, v62
	v_add_f16_e32 v10, v11, v10
	v_fma_f16 v11, v63, 0x3722, -v132
	v_add_f16_e32 v12, v53, v12
	v_fmac_f16_e32 v48, 0xba62, v62
	v_add_f16_e32 v8, v9, v8
	v_fma_f16 v9, v61, 0xb8d2, -v34
	v_add_f16_e32 v41, v46, v42
	v_fmamk_f16 v35, v72, 0x31e1, v38
	v_and_b32_e32 v14, 0xffff, v21
	v_add_f16_e32 v117, v125, v117
	v_fmamk_f16 v40, v73, 0x3b76, v68
	v_fma_f16 v166, v73, 0x39e9, -v147
	v_add_f16_e64 v95, v137, v95
	v_fmac_f16_e64 v147, 0x39e9, v73
	v_add_f16_e32 v17, v106, v17
	v_fmac_f16_e32 v109, 0xbbf7, v64
	v_add_f16_e32 v10, v11, v10
	v_add_f16_e32 v11, v48, v12
	v_fmac_f16_e32 v45, 0xb836, v64
	v_add_f16_e32 v8, v9, v8
	v_fma_f16 v9, v63, 0xbacd, -v32
	v_add_f16_e32 v30, v35, v41
	v_fma_f16 v12, v73, 0x3b76, -v68
	v_mul_u32_u24_e32 v14, 0xcc, v14
	v_add_f16_e32 v40, v40, v117
	v_fmac_f16_e64 v129, 0x35c8, v72
	v_add_f16_e64 v95, v147, v95
	v_add_f16_e32 v17, v109, v17
	v_fmac_f16_e32 v113, 0xb836, v72
	v_add_f16_e32 v11, v45, v11
	v_fmac_f16_e32 v38, 0xb1e1, v72
	v_add_f16_e32 v8, v9, v8
	v_fma_f16 v9, v73, 0xbbdd, -v29
	v_add_f16_e32 v10, v12, v10
	v_add3_u32 v1, 0, v14, v1
	v_pack_b32_f16 v12, v20, v16
	v_pack_b32_f16 v14, v19, v30
	v_add_f16_e64 v13, v129, v18
	v_pack_b32_f16 v16, v40, v114
	v_pack_b32_f16 v18, v104, v96
	v_add_f16_e64 v77, v166, v77
	v_pack_b32_f16 v19, v95, v94
	v_pack_b32_f16 v20, v93, v92
	v_add_f16_e32 v17, v113, v17
	v_pack_b32_f16 v21, v91, v90
	v_pack_b32_f16 v22, v89, v88
	v_add_f16_e32 v11, v38, v11
	v_add_f16_e32 v8, v9, v8
	ds_store_2addr_b32 v1, v12, v14 offset1:3
	ds_store_2addr_b32 v1, v16, v18 offset0:6 offset1:9
	ds_store_2addr_b32 v1, v19, v20 offset0:12 offset1:15
	;; [unrolled: 1-line block ×3, first 2 shown]
	v_pack_b32_f16 v9, v87, v86
	v_pack_b32_f16 v12, v85, v84
	;; [unrolled: 1-line block ×9, first 2 shown]
	ds_store_2addr_b32 v1, v9, v12 offset0:24 offset1:27
	ds_store_2addr_b32 v1, v14, v16 offset0:30 offset1:33
	;; [unrolled: 1-line block ×4, first 2 shown]
	ds_store_b32 v1, v8 offset:192
.LBB0_23:
	s_wait_alu 0xfffe
	s_or_b32 exec_lo, exec_lo, s1
	v_mul_u32_u24_e32 v1, 6, v0
	global_wb scope:SCOPE_SE
	s_wait_dscnt 0x0
	s_barrier_signal -1
	s_barrier_wait -1
	global_inv scope:SCOPE_SE
	v_lshlrev_b32_e32 v1, 2, v1
	v_add_nc_u32_e32 v9, 0x600, v24
	v_add_nc_u32_e32 v8, 0x800, v24
	v_add_co_u32 v4, s0, s4, v4
	s_clause 0x1
	global_load_b128 v[10:13], v1, s[4:5] offset:192
	global_load_b64 v[14:15], v1, s[4:5] offset:208
	v_add_nc_u32_e32 v1, 0x400, v24
	ds_load_2addr_b32 v[16:17], v24 offset0:102 offset1:153
	ds_load_2addr_b32 v[18:19], v24 offset0:204 offset1:255
	ds_load_2addr_b32 v[20:21], v24 offset1:51
	ds_load_2addr_b32 v[22:23], v1 offset0:50 offset1:101
	ds_load_2addr_b32 v[25:26], v1 offset0:152 offset1:203
	;; [unrolled: 1-line block ×4, first 2 shown]
	s_wait_alu 0xf1ff
	v_add_co_ci_u32_e64 v5, s0, s5, v5, s0
	v_add_co_u32 v6, s0, s4, v6
	s_wait_alu 0xf1ff
	v_add_co_ci_u32_e64 v7, s0, s5, v7, s0
	global_wb scope:SCOPE_SE
	s_wait_loadcnt_dscnt 0x0
	s_barrier_signal -1
	s_barrier_wait -1
	global_inv scope:SCOPE_SE
	v_lshrrev_b32_e32 v35, 16, v20
	v_lshrrev_b32_e32 v33, 16, v16
	;; [unrolled: 1-line block ×20, first 2 shown]
	v_mul_f16_e32 v51, v45, v33
	v_mul_f16_e32 v52, v45, v16
	;; [unrolled: 1-line block ×24, first 2 shown]
	v_fmac_f16_e32 v51, v10, v16
	v_fma_f16 v16, v10, v33, -v52
	v_fmac_f16_e32 v53, v11, v18
	v_fma_f16 v18, v11, v34, -v54
	;; [unrolled: 2-line block ×12, first 2 shown]
	v_add_f16_e32 v17, v51, v61
	v_add_f16_e32 v19, v16, v29
	;; [unrolled: 1-line block ×4, first 2 shown]
	v_sub_f16_e32 v16, v16, v29
	v_sub_f16_e32 v18, v18, v27
	v_add_f16_e32 v30, v22, v25
	v_sub_f16_e32 v22, v25, v22
	v_add_f16_e32 v25, v63, v68
	v_add_f16_e32 v32, v10, v15
	v_sub_f16_e32 v10, v10, v15
	v_add_f16_e32 v15, v64, v67
	v_add_f16_e32 v34, v11, v14
	v_sub_f16_e32 v23, v51, v61
	v_sub_f16_e32 v29, v53, v59
	v_add_f16_e32 v27, v55, v57
	v_sub_f16_e32 v31, v57, v55
	v_sub_f16_e32 v11, v11, v14
	v_add_f16_e32 v38, v12, v13
	v_sub_f16_e32 v12, v13, v12
	v_add_f16_e32 v13, v26, v17
	v_add_f16_e32 v40, v28, v19
	v_sub_f16_e32 v33, v63, v68
	v_sub_f16_e32 v37, v64, v67
	v_add_f16_e32 v14, v65, v66
	v_sub_f16_e32 v39, v66, v65
	v_sub_f16_e32 v42, v28, v19
	;; [unrolled: 1-line block ×4, first 2 shown]
	v_add_f16_e32 v44, v22, v18
	v_sub_f16_e32 v46, v22, v18
	v_sub_f16_e32 v18, v18, v16
	v_add_f16_e32 v47, v15, v25
	v_add_f16_e32 v48, v34, v32
	v_sub_f16_e32 v41, v26, v17
	v_sub_f16_e32 v17, v17, v27
	;; [unrolled: 1-line block ×3, first 2 shown]
	v_add_f16_e32 v43, v31, v29
	v_sub_f16_e32 v45, v31, v29
	v_sub_f16_e32 v29, v29, v23
	v_add_f16_e32 v52, v12, v11
	v_sub_f16_e32 v54, v12, v11
	v_sub_f16_e32 v11, v11, v10
	v_add_f16_e32 v13, v27, v13
	v_add_f16_e32 v27, v30, v40
	v_sub_f16_e32 v22, v16, v22
	v_sub_f16_e32 v49, v15, v25
	;; [unrolled: 1-line block ×7, first 2 shown]
	v_add_f16_e32 v51, v39, v37
	v_sub_f16_e32 v53, v39, v37
	v_sub_f16_e32 v37, v37, v33
	v_add_f16_e32 v16, v44, v16
	v_mul_f16_e32 v19, 0x3a52, v19
	v_mul_f16_e32 v40, 0x2b26, v28
	;; [unrolled: 1-line block ×4, first 2 shown]
	v_add_f16_e32 v14, v14, v47
	v_add_f16_e32 v38, v38, v48
	v_sub_f16_e32 v31, v23, v31
	v_sub_f16_e32 v12, v10, v12
	v_add_f16_e32 v23, v43, v23
	v_mul_f16_e32 v17, 0x3a52, v17
	v_mul_f16_e32 v30, 0x2b26, v26
	;; [unrolled: 1-line block ×4, first 2 shown]
	v_add_f16_e32 v10, v52, v10
	v_mul_f16_e32 v52, 0x3846, v54
	v_mul_f16_e32 v54, 0xbb00, v11
	v_add_f16_e32 v20, v13, v20
	v_add_f16_e32 v35, v27, v35
	v_sub_f16_e32 v39, v33, v39
	v_add_f16_e32 v33, v51, v33
	v_mul_f16_e32 v25, 0x3a52, v25
	v_mul_f16_e32 v32, 0x3a52, v32
	;; [unrolled: 1-line block ×6, first 2 shown]
	v_fmamk_f16 v28, v28, 0x2b26, v19
	v_fma_f16 v40, v42, 0x39e0, -v40
	v_fma_f16 v19, v42, 0xb9e0, -v19
	v_fmamk_f16 v42, v22, 0xb574, v44
	v_fma_f16 v18, v18, 0xbb00, -v44
	v_fma_f16 v22, v22, 0x3574, -v46
	v_add_f16_e32 v21, v14, v21
	v_add_f16_e32 v36, v38, v36
	v_fmamk_f16 v26, v26, 0x2b26, v17
	v_fma_f16 v30, v41, 0x39e0, -v30
	v_fma_f16 v17, v41, 0xb9e0, -v17
	v_fmamk_f16 v41, v31, 0xb574, v43
	v_fma_f16 v29, v29, 0xbb00, -v43
	v_fma_f16 v31, v31, 0x3574, -v45
	;; [unrolled: 3-line block ×3, first 2 shown]
	v_fmamk_f16 v13, v13, 0xbcab, v20
	v_fmamk_f16 v27, v27, 0xbcab, v35
	;; [unrolled: 1-line block ×4, first 2 shown]
	v_fma_f16 v43, v49, 0x39e0, -v47
	v_fma_f16 v44, v50, 0x39e0, -v48
	;; [unrolled: 1-line block ×4, first 2 shown]
	v_fmamk_f16 v45, v39, 0xb574, v51
	v_fma_f16 v37, v37, 0xbb00, -v51
	v_fma_f16 v39, v39, 0x3574, -v53
	v_fmac_f16_e32 v42, 0xb70e, v16
	v_fmac_f16_e32 v18, 0xb70e, v16
	;; [unrolled: 1-line block ×3, first 2 shown]
	v_fmamk_f16 v14, v14, 0xbcab, v21
	v_fmamk_f16 v16, v38, 0xbcab, v36
	v_fmac_f16_e32 v41, 0xb70e, v23
	v_fmac_f16_e32 v29, 0xb70e, v23
	;; [unrolled: 1-line block ×6, first 2 shown]
	v_pack_b32_f16 v10, v20, v35
	v_pack_b32_f16 v20, v21, v36
	v_add_f16_e32 v21, v26, v13
	v_add_f16_e32 v23, v28, v27
	;; [unrolled: 1-line block ×6, first 2 shown]
	v_fmac_f16_e32 v45, 0xb70e, v33
	v_fmac_f16_e32 v37, 0xb70e, v33
	v_fmac_f16_e32 v39, 0xb70e, v33
	v_add_f16_e32 v15, v15, v14
	v_add_f16_e32 v19, v34, v16
	;; [unrolled: 1-line block ×7, first 2 shown]
	v_sub_f16_e32 v32, v23, v41
	v_add_f16_e32 v33, v22, v13
	v_sub_f16_e32 v34, v17, v31
	v_sub_f16_e32 v35, v26, v18
	v_add_f16_e32 v36, v29, v28
	v_add_f16_e32 v18, v18, v26
	v_sub_f16_e32 v26, v28, v29
	v_sub_f16_e32 v13, v13, v22
	v_add_f16_e32 v17, v31, v17
	v_sub_f16_e32 v21, v21, v42
	v_add_f16_e32 v22, v41, v23
	v_add_f16_e32 v23, v46, v15
	v_sub_f16_e32 v28, v19, v45
	v_add_f16_e32 v29, v12, v14
	v_sub_f16_e32 v31, v16, v39
	v_sub_f16_e32 v38, v27, v11
	v_add_f16_e32 v40, v37, v30
	v_add_f16_e32 v11, v11, v27
	v_sub_f16_e32 v27, v30, v37
	v_sub_f16_e32 v12, v14, v12
	v_add_f16_e32 v14, v39, v16
	v_sub_f16_e32 v15, v15, v46
	v_add_f16_e32 v16, v45, v19
	v_pack_b32_f16 v19, v25, v32
	v_pack_b32_f16 v25, v33, v34
	;; [unrolled: 1-line block ×12, first 2 shown]
	ds_store_2addr_b32 v24, v10, v19 offset1:51
	ds_store_2addr_b32 v24, v25, v30 offset0:102 offset1:153
	ds_store_2addr_b32 v24, v18, v13 offset0:204 offset1:255
	;; [unrolled: 1-line block ×6, first 2 shown]
	global_wb scope:SCOPE_SE
	s_wait_dscnt 0x0
	s_barrier_signal -1
	s_barrier_wait -1
	global_inv scope:SCOPE_SE
	s_clause 0x6
	global_load_b32 v20, v[6:7], off offset:2640
	global_load_b32 v21, v[4:5], off offset:1416
	;; [unrolled: 1-line block ×7, first 2 shown]
	ds_load_2addr_b32 v[4:5], v1 offset0:50 offset1:101
	ds_load_2addr_b32 v[6:7], v1 offset0:152 offset1:203
	;; [unrolled: 1-line block ×3, first 2 shown]
	ds_load_u16 v28, v24 offset:2246
	ds_load_2addr_b32 v[12:13], v8 offset0:100 offset1:151
	ds_load_2addr_b32 v[14:15], v24 offset1:51
	ds_load_2addr_b32 v[16:17], v24 offset0:102 offset1:153
	ds_load_2addr_b32 v[18:19], v24 offset0:204 offset1:255
	global_wb scope:SCOPE_SE
	s_wait_loadcnt_dscnt 0x0
	s_barrier_signal -1
	s_barrier_wait -1
	global_inv scope:SCOPE_SE
	v_pk_mul_f16 v34, v13, v20 op_sel:[0,1]
	v_pk_mul_f16 v29, v21, v5 op_sel:[0,1]
	;; [unrolled: 1-line block ×5, first 2 shown]
	v_pk_mul_f16 v28, v28, v26 op_sel_hi:[0,1]
	v_pk_mul_f16 v33, v12, v27 op_sel:[0,1]
	v_pk_fma_f16 v35, v21, v5, v29 op_sel:[0,0,1] op_sel_hi:[1,1,0]
	v_pk_fma_f16 v5, v21, v5, v29 op_sel:[0,0,1] op_sel_hi:[1,0,0] neg_lo:[1,0,0] neg_hi:[1,0,0]
	v_pk_fma_f16 v21, v22, v6, v30 op_sel:[0,0,1] op_sel_hi:[1,1,0]
	v_pk_fma_f16 v6, v22, v6, v30 op_sel:[0,0,1] op_sel_hi:[1,0,0] neg_lo:[1,0,0] neg_hi:[1,0,0]
	;; [unrolled: 2-line block ×7, first 2 shown]
	v_bfi_b32 v5, 0xffff, v35, v5
	v_bfi_b32 v6, 0xffff, v21, v6
	;; [unrolled: 1-line block ×7, first 2 shown]
	v_pk_add_f16 v5, v14, v5 neg_lo:[0,1] neg_hi:[0,1]
	v_pk_add_f16 v6, v15, v6 neg_lo:[0,1] neg_hi:[0,1]
	;; [unrolled: 1-line block ×7, first 2 shown]
	v_pk_fma_f16 v14, v14, 2.0, v5 op_sel_hi:[1,0,1] neg_lo:[0,0,1] neg_hi:[0,0,1]
	v_pk_fma_f16 v15, v15, 2.0, v6 op_sel_hi:[1,0,1] neg_lo:[0,0,1] neg_hi:[0,0,1]
	;; [unrolled: 1-line block ×7, first 2 shown]
	ds_store_2addr_b32 v1, v6, v7 offset0:152 offset1:203
	ds_store_2addr_b32 v9, v10, v11 offset0:126 offset1:177
	;; [unrolled: 1-line block ×3, first 2 shown]
	ds_store_2addr_b32 v24, v14, v15 offset1:51
	ds_store_2addr_b32 v24, v16, v17 offset0:102 offset1:153
	ds_store_2addr_b32 v24, v18, v19 offset0:204 offset1:255
	;; [unrolled: 1-line block ×3, first 2 shown]
	global_wb scope:SCOPE_SE
	s_wait_dscnt 0x0
	s_barrier_signal -1
	s_barrier_wait -1
	global_inv scope:SCOPE_SE
	s_and_saveexec_b32 s0, vcc_lo
	s_cbranch_execz .LBB0_25
; %bb.24:
	v_dual_mov_b32 v1, 0 :: v_dual_add_nc_u32 v4, 51, v0
	v_add_co_u32 v29, vcc_lo, s8, v2
	s_wait_alu 0xfffd
	v_add_co_ci_u32_e32 v30, vcc_lo, s9, v3, vcc_lo
	s_delay_alu instid0(VALU_DEP_3) | instskip(SKIP_2) | instid1(VALU_DEP_3)
	v_dual_mov_b32 v5, v1 :: v_dual_add_nc_u32 v8, 0x66, v0
	v_lshlrev_b64_e32 v[2:3], 2, v[0:1]
	v_dual_mov_b32 v9, v1 :: v_dual_add_nc_u32 v10, 0x99, v0
	v_lshlrev_b64_e32 v[4:5], 2, v[4:5]
	v_lshl_add_u32 v28, v0, 2, 0
	v_dual_mov_b32 v11, v1 :: v_dual_add_nc_u32 v14, 0xcc, v0
	v_add_co_u32 v2, vcc_lo, v29, v2
	v_lshlrev_b64_e32 v[8:9], 2, v[8:9]
	v_dual_mov_b32 v15, v1 :: v_dual_add_nc_u32 v18, 0xff, v0
	s_wait_alu 0xfffd
	v_add_co_ci_u32_e32 v3, vcc_lo, v30, v3, vcc_lo
	ds_load_2addr_b32 v[6:7], v28 offset1:51
	v_add_co_u32 v4, vcc_lo, v29, v4
	v_lshlrev_b64_e32 v[10:11], 2, v[10:11]
	v_dual_mov_b32 v19, v1 :: v_dual_add_nc_u32 v20, 0x132, v0
	v_add_nc_u32_e32 v31, 0x400, v28
	s_wait_alu 0xfffd
	v_add_co_ci_u32_e32 v5, vcc_lo, v30, v5, vcc_lo
	ds_load_2addr_b32 v[12:13], v28 offset0:102 offset1:153
	v_add_co_u32 v8, vcc_lo, v29, v8
	v_lshlrev_b64_e32 v[14:15], 2, v[14:15]
	ds_load_2addr_b32 v[16:17], v28 offset0:204 offset1:255
	v_dual_mov_b32 v21, v1 :: v_dual_add_nc_u32 v24, 0x165, v0
	s_wait_alu 0xfffd
	v_add_co_ci_u32_e32 v9, vcc_lo, v30, v9, vcc_lo
	v_add_co_u32 v10, vcc_lo, v29, v10
	v_lshlrev_b64_e32 v[18:19], 2, v[18:19]
	ds_load_2addr_b32 v[22:23], v31 offset0:50 offset1:101
	v_dual_mov_b32 v25, v1 :: v_dual_add_nc_u32 v26, 0x198, v0
	s_wait_alu 0xfffd
	v_add_co_ci_u32_e32 v11, vcc_lo, v30, v11, vcc_lo
	v_add_co_u32 v14, vcc_lo, v29, v14
	v_lshlrev_b64_e32 v[20:21], 2, v[20:21]
	s_wait_alu 0xfffd
	v_add_co_ci_u32_e32 v15, vcc_lo, v30, v15, vcc_lo
	v_add_co_u32 v18, vcc_lo, v29, v18
	v_lshlrev_b64_e32 v[24:25], 2, v[24:25]
	s_wait_alu 0xfffd
	v_add_co_ci_u32_e32 v19, vcc_lo, v30, v19, vcc_lo
	v_add_co_u32 v20, vcc_lo, v29, v20
	s_wait_alu 0xfffd
	v_add_co_ci_u32_e32 v21, vcc_lo, v30, v21, vcc_lo
	v_mov_b32_e32 v27, v1
	v_add_co_u32 v24, vcc_lo, v29, v24
	s_wait_alu 0xfffd
	v_add_co_ci_u32_e32 v25, vcc_lo, v30, v25, vcc_lo
	s_wait_dscnt 0x3
	s_clause 0x1
	global_store_b32 v[2:3], v6, off
	global_store_b32 v[4:5], v7, off
	s_wait_dscnt 0x2
	s_clause 0x1
	global_store_b32 v[8:9], v12, off
	global_store_b32 v[10:11], v13, off
	;; [unrolled: 4-line block ×4, first 2 shown]
	v_dual_mov_b32 v5, v1 :: v_dual_add_nc_u32 v4, 0x1cb, v0
	v_add_nc_u32_e32 v8, 0x1fe, v0
	v_lshlrev_b64_e32 v[26:27], 2, v[26:27]
	v_dual_mov_b32 v9, v1 :: v_dual_add_nc_u32 v12, 0x600, v28
	v_add_nc_u32_e32 v16, 0x800, v28
	ds_load_2addr_b32 v[2:3], v31 offset0:152 offset1:203
	v_lshlrev_b64_e32 v[4:5], 2, v[4:5]
	v_dual_mov_b32 v11, v1 :: v_dual_add_nc_u32 v10, 0x231, v0
	ds_load_2addr_b32 v[12:13], v12 offset0:126 offset1:177
	v_add_co_u32 v6, vcc_lo, v29, v26
	v_lshlrev_b64_e32 v[8:9], 2, v[8:9]
	v_dual_mov_b32 v15, v1 :: v_dual_add_nc_u32 v14, 0x264, v0
	ds_load_2addr_b32 v[16:17], v16 offset0:100 offset1:151
	s_wait_alu 0xfffd
	v_add_co_ci_u32_e32 v7, vcc_lo, v30, v27, vcc_lo
	v_add_co_u32 v4, vcc_lo, v29, v4
	v_lshlrev_b64_e32 v[10:11], 2, v[10:11]
	v_add_nc_u32_e32 v0, 0x297, v0
	s_wait_alu 0xfffd
	v_add_co_ci_u32_e32 v5, vcc_lo, v30, v5, vcc_lo
	v_add_co_u32 v8, vcc_lo, v29, v8
	v_lshlrev_b64_e32 v[14:15], 2, v[14:15]
	s_wait_alu 0xfffd
	v_add_co_ci_u32_e32 v9, vcc_lo, v30, v9, vcc_lo
	v_add_co_u32 v10, vcc_lo, v29, v10
	v_lshlrev_b64_e32 v[0:1], 2, v[0:1]
	s_wait_alu 0xfffd
	v_add_co_ci_u32_e32 v11, vcc_lo, v30, v11, vcc_lo
	v_add_co_u32 v14, vcc_lo, v29, v14
	s_wait_alu 0xfffd
	v_add_co_ci_u32_e32 v15, vcc_lo, v30, v15, vcc_lo
	v_add_co_u32 v0, vcc_lo, v29, v0
	s_wait_alu 0xfffd
	v_add_co_ci_u32_e32 v1, vcc_lo, v30, v1, vcc_lo
	s_wait_dscnt 0x2
	s_clause 0x1
	global_store_b32 v[6:7], v2, off
	global_store_b32 v[4:5], v3, off
	s_wait_dscnt 0x1
	s_clause 0x1
	global_store_b32 v[8:9], v12, off
	global_store_b32 v[10:11], v13, off
	;; [unrolled: 4-line block ×3, first 2 shown]
.LBB0_25:
	s_nop 0
	s_sendmsg sendmsg(MSG_DEALLOC_VGPRS)
	s_endpgm
	.section	.rodata,"a",@progbits
	.p2align	6, 0x0
	.amdhsa_kernel fft_rtc_back_len714_factors_3_17_7_2_wgs_51_tpt_51_halfLds_half_ip_CI_unitstride_sbrr_C2R_dirReg
		.amdhsa_group_segment_fixed_size 0
		.amdhsa_private_segment_fixed_size 0
		.amdhsa_kernarg_size 88
		.amdhsa_user_sgpr_count 2
		.amdhsa_user_sgpr_dispatch_ptr 0
		.amdhsa_user_sgpr_queue_ptr 0
		.amdhsa_user_sgpr_kernarg_segment_ptr 1
		.amdhsa_user_sgpr_dispatch_id 0
		.amdhsa_user_sgpr_private_segment_size 0
		.amdhsa_wavefront_size32 1
		.amdhsa_uses_dynamic_stack 0
		.amdhsa_enable_private_segment 0
		.amdhsa_system_sgpr_workgroup_id_x 1
		.amdhsa_system_sgpr_workgroup_id_y 0
		.amdhsa_system_sgpr_workgroup_id_z 0
		.amdhsa_system_sgpr_workgroup_info 0
		.amdhsa_system_vgpr_workitem_id 0
		.amdhsa_next_free_vgpr 171
		.amdhsa_next_free_sgpr 32
		.amdhsa_reserve_vcc 1
		.amdhsa_float_round_mode_32 0
		.amdhsa_float_round_mode_16_64 0
		.amdhsa_float_denorm_mode_32 3
		.amdhsa_float_denorm_mode_16_64 3
		.amdhsa_fp16_overflow 0
		.amdhsa_workgroup_processor_mode 1
		.amdhsa_memory_ordered 1
		.amdhsa_forward_progress 0
		.amdhsa_round_robin_scheduling 0
		.amdhsa_exception_fp_ieee_invalid_op 0
		.amdhsa_exception_fp_denorm_src 0
		.amdhsa_exception_fp_ieee_div_zero 0
		.amdhsa_exception_fp_ieee_overflow 0
		.amdhsa_exception_fp_ieee_underflow 0
		.amdhsa_exception_fp_ieee_inexact 0
		.amdhsa_exception_int_div_zero 0
	.end_amdhsa_kernel
	.text
.Lfunc_end0:
	.size	fft_rtc_back_len714_factors_3_17_7_2_wgs_51_tpt_51_halfLds_half_ip_CI_unitstride_sbrr_C2R_dirReg, .Lfunc_end0-fft_rtc_back_len714_factors_3_17_7_2_wgs_51_tpt_51_halfLds_half_ip_CI_unitstride_sbrr_C2R_dirReg
                                        ; -- End function
	.section	.AMDGPU.csdata,"",@progbits
; Kernel info:
; codeLenInByte = 13656
; NumSgprs: 34
; NumVgprs: 171
; ScratchSize: 0
; MemoryBound: 0
; FloatMode: 240
; IeeeMode: 1
; LDSByteSize: 0 bytes/workgroup (compile time only)
; SGPRBlocks: 4
; VGPRBlocks: 21
; NumSGPRsForWavesPerEU: 34
; NumVGPRsForWavesPerEU: 171
; Occupancy: 8
; WaveLimiterHint : 1
; COMPUTE_PGM_RSRC2:SCRATCH_EN: 0
; COMPUTE_PGM_RSRC2:USER_SGPR: 2
; COMPUTE_PGM_RSRC2:TRAP_HANDLER: 0
; COMPUTE_PGM_RSRC2:TGID_X_EN: 1
; COMPUTE_PGM_RSRC2:TGID_Y_EN: 0
; COMPUTE_PGM_RSRC2:TGID_Z_EN: 0
; COMPUTE_PGM_RSRC2:TIDIG_COMP_CNT: 0
	.text
	.p2alignl 7, 3214868480
	.fill 96, 4, 3214868480
	.type	__hip_cuid_82bff73a0011ff27,@object ; @__hip_cuid_82bff73a0011ff27
	.section	.bss,"aw",@nobits
	.globl	__hip_cuid_82bff73a0011ff27
__hip_cuid_82bff73a0011ff27:
	.byte	0                               ; 0x0
	.size	__hip_cuid_82bff73a0011ff27, 1

	.ident	"AMD clang version 19.0.0git (https://github.com/RadeonOpenCompute/llvm-project roc-6.4.0 25133 c7fe45cf4b819c5991fe208aaa96edf142730f1d)"
	.section	".note.GNU-stack","",@progbits
	.addrsig
	.addrsig_sym __hip_cuid_82bff73a0011ff27
	.amdgpu_metadata
---
amdhsa.kernels:
  - .args:
      - .actual_access:  read_only
        .address_space:  global
        .offset:         0
        .size:           8
        .value_kind:     global_buffer
      - .offset:         8
        .size:           8
        .value_kind:     by_value
      - .actual_access:  read_only
        .address_space:  global
        .offset:         16
        .size:           8
        .value_kind:     global_buffer
      - .actual_access:  read_only
        .address_space:  global
        .offset:         24
        .size:           8
        .value_kind:     global_buffer
      - .offset:         32
        .size:           8
        .value_kind:     by_value
      - .actual_access:  read_only
        .address_space:  global
        .offset:         40
        .size:           8
        .value_kind:     global_buffer
      - .actual_access:  read_only
        .address_space:  global
        .offset:         48
        .size:           8
        .value_kind:     global_buffer
      - .offset:         56
        .size:           4
        .value_kind:     by_value
      - .actual_access:  read_only
        .address_space:  global
        .offset:         64
        .size:           8
        .value_kind:     global_buffer
      - .actual_access:  read_only
        .address_space:  global
        .offset:         72
        .size:           8
        .value_kind:     global_buffer
      - .address_space:  global
        .offset:         80
        .size:           8
        .value_kind:     global_buffer
    .group_segment_fixed_size: 0
    .kernarg_segment_align: 8
    .kernarg_segment_size: 88
    .language:       OpenCL C
    .language_version:
      - 2
      - 0
    .max_flat_workgroup_size: 51
    .name:           fft_rtc_back_len714_factors_3_17_7_2_wgs_51_tpt_51_halfLds_half_ip_CI_unitstride_sbrr_C2R_dirReg
    .private_segment_fixed_size: 0
    .sgpr_count:     34
    .sgpr_spill_count: 0
    .symbol:         fft_rtc_back_len714_factors_3_17_7_2_wgs_51_tpt_51_halfLds_half_ip_CI_unitstride_sbrr_C2R_dirReg.kd
    .uniform_work_group_size: 1
    .uses_dynamic_stack: false
    .vgpr_count:     171
    .vgpr_spill_count: 0
    .wavefront_size: 32
    .workgroup_processor_mode: 1
amdhsa.target:   amdgcn-amd-amdhsa--gfx1201
amdhsa.version:
  - 1
  - 2
...

	.end_amdgpu_metadata
